;; amdgpu-corpus repo=ROCm/rocFFT kind=compiled arch=gfx906 opt=O3
	.text
	.amdgcn_target "amdgcn-amd-amdhsa--gfx906"
	.amdhsa_code_object_version 6
	.protected	fft_rtc_fwd_len238_factors_17_7_2_wgs_51_tpt_17_halfLds_dp_ip_CI_unitstride_sbrr_R2C_dirReg ; -- Begin function fft_rtc_fwd_len238_factors_17_7_2_wgs_51_tpt_17_halfLds_dp_ip_CI_unitstride_sbrr_R2C_dirReg
	.globl	fft_rtc_fwd_len238_factors_17_7_2_wgs_51_tpt_17_halfLds_dp_ip_CI_unitstride_sbrr_R2C_dirReg
	.p2align	8
	.type	fft_rtc_fwd_len238_factors_17_7_2_wgs_51_tpt_17_halfLds_dp_ip_CI_unitstride_sbrr_R2C_dirReg,@function
fft_rtc_fwd_len238_factors_17_7_2_wgs_51_tpt_17_halfLds_dp_ip_CI_unitstride_sbrr_R2C_dirReg: ; @fft_rtc_fwd_len238_factors_17_7_2_wgs_51_tpt_17_halfLds_dp_ip_CI_unitstride_sbrr_R2C_dirReg
; %bb.0:
	s_load_dwordx2 s[2:3], s[4:5], 0x50
	s_load_dwordx4 s[8:11], s[4:5], 0x0
	s_load_dwordx2 s[12:13], s[4:5], 0x18
	v_mul_u32_u24_e32 v1, 0xf10, v0
	v_lshrrev_b32_e32 v1, 16, v1
	v_mad_u64_u32 v[1:2], s[0:1], s6, 3, v[1:2]
	v_mov_b32_e32 v5, 0
	s_waitcnt lgkmcnt(0)
	v_cmp_lt_u64_e64 s[0:1], s[10:11], 2
	v_mov_b32_e32 v2, v5
	v_mov_b32_e32 v3, 0
	;; [unrolled: 1-line block ×3, first 2 shown]
	s_and_b64 vcc, exec, s[0:1]
	v_mov_b32_e32 v4, 0
	v_mov_b32_e32 v9, v1
	s_cbranch_vccnz .LBB0_8
; %bb.1:
	s_load_dwordx2 s[0:1], s[4:5], 0x10
	s_add_u32 s6, s12, 8
	s_addc_u32 s7, s13, 0
	v_mov_b32_e32 v3, 0
	v_mov_b32_e32 v8, v2
	s_waitcnt lgkmcnt(0)
	s_add_u32 s16, s0, 8
	s_mov_b64 s[14:15], 1
	v_mov_b32_e32 v4, 0
	s_addc_u32 s17, s1, 0
	v_mov_b32_e32 v7, v1
.LBB0_2:                                ; =>This Inner Loop Header: Depth=1
	s_load_dwordx2 s[18:19], s[16:17], 0x0
                                        ; implicit-def: $vgpr9_vgpr10
	s_waitcnt lgkmcnt(0)
	v_or_b32_e32 v6, s19, v8
	v_cmp_ne_u64_e32 vcc, 0, v[5:6]
	s_and_saveexec_b64 s[0:1], vcc
	s_xor_b64 s[20:21], exec, s[0:1]
	s_cbranch_execz .LBB0_4
; %bb.3:                                ;   in Loop: Header=BB0_2 Depth=1
	v_cvt_f32_u32_e32 v2, s18
	v_cvt_f32_u32_e32 v6, s19
	s_sub_u32 s0, 0, s18
	s_subb_u32 s1, 0, s19
	v_mac_f32_e32 v2, 0x4f800000, v6
	v_rcp_f32_e32 v2, v2
	v_mul_f32_e32 v2, 0x5f7ffffc, v2
	v_mul_f32_e32 v6, 0x2f800000, v2
	v_trunc_f32_e32 v6, v6
	v_mac_f32_e32 v2, 0xcf800000, v6
	v_cvt_u32_f32_e32 v6, v6
	v_cvt_u32_f32_e32 v2, v2
	v_mul_lo_u32 v9, s0, v6
	v_mul_hi_u32 v10, s0, v2
	v_mul_lo_u32 v12, s1, v2
	v_mul_lo_u32 v11, s0, v2
	v_add_u32_e32 v9, v10, v9
	v_add_u32_e32 v9, v9, v12
	v_mul_hi_u32 v10, v2, v11
	v_mul_lo_u32 v12, v2, v9
	v_mul_hi_u32 v14, v2, v9
	v_mul_hi_u32 v13, v6, v11
	v_mul_lo_u32 v11, v6, v11
	v_mul_hi_u32 v15, v6, v9
	v_add_co_u32_e32 v10, vcc, v10, v12
	v_addc_co_u32_e32 v12, vcc, 0, v14, vcc
	v_mul_lo_u32 v9, v6, v9
	v_add_co_u32_e32 v10, vcc, v10, v11
	v_addc_co_u32_e32 v10, vcc, v12, v13, vcc
	v_addc_co_u32_e32 v11, vcc, 0, v15, vcc
	v_add_co_u32_e32 v9, vcc, v10, v9
	v_addc_co_u32_e32 v10, vcc, 0, v11, vcc
	v_add_co_u32_e32 v2, vcc, v2, v9
	v_addc_co_u32_e32 v6, vcc, v6, v10, vcc
	v_mul_lo_u32 v9, s0, v6
	v_mul_hi_u32 v10, s0, v2
	v_mul_lo_u32 v11, s1, v2
	v_mul_lo_u32 v12, s0, v2
	v_add_u32_e32 v9, v10, v9
	v_add_u32_e32 v9, v9, v11
	v_mul_lo_u32 v13, v2, v9
	v_mul_hi_u32 v14, v2, v12
	v_mul_hi_u32 v15, v2, v9
	;; [unrolled: 1-line block ×3, first 2 shown]
	v_mul_lo_u32 v12, v6, v12
	v_mul_hi_u32 v10, v6, v9
	v_add_co_u32_e32 v13, vcc, v14, v13
	v_addc_co_u32_e32 v14, vcc, 0, v15, vcc
	v_mul_lo_u32 v9, v6, v9
	v_add_co_u32_e32 v12, vcc, v13, v12
	v_addc_co_u32_e32 v11, vcc, v14, v11, vcc
	v_addc_co_u32_e32 v10, vcc, 0, v10, vcc
	v_add_co_u32_e32 v9, vcc, v11, v9
	v_addc_co_u32_e32 v10, vcc, 0, v10, vcc
	v_add_co_u32_e32 v2, vcc, v2, v9
	v_addc_co_u32_e32 v6, vcc, v6, v10, vcc
	v_mad_u64_u32 v[9:10], s[0:1], v7, v6, 0
	v_mul_hi_u32 v11, v7, v2
	v_add_co_u32_e32 v13, vcc, v11, v9
	v_addc_co_u32_e32 v14, vcc, 0, v10, vcc
	v_mad_u64_u32 v[9:10], s[0:1], v8, v2, 0
	v_mad_u64_u32 v[11:12], s[0:1], v8, v6, 0
	v_add_co_u32_e32 v2, vcc, v13, v9
	v_addc_co_u32_e32 v2, vcc, v14, v10, vcc
	v_addc_co_u32_e32 v6, vcc, 0, v12, vcc
	v_add_co_u32_e32 v2, vcc, v2, v11
	v_addc_co_u32_e32 v6, vcc, 0, v6, vcc
	v_mul_lo_u32 v11, s19, v2
	v_mul_lo_u32 v12, s18, v6
	v_mad_u64_u32 v[9:10], s[0:1], s18, v2, 0
	v_add3_u32 v10, v10, v12, v11
	v_sub_u32_e32 v11, v8, v10
	v_mov_b32_e32 v12, s19
	v_sub_co_u32_e32 v9, vcc, v7, v9
	v_subb_co_u32_e64 v11, s[0:1], v11, v12, vcc
	v_subrev_co_u32_e64 v12, s[0:1], s18, v9
	v_subbrev_co_u32_e64 v11, s[0:1], 0, v11, s[0:1]
	v_cmp_le_u32_e64 s[0:1], s19, v11
	v_cndmask_b32_e64 v13, 0, -1, s[0:1]
	v_cmp_le_u32_e64 s[0:1], s18, v12
	v_cndmask_b32_e64 v12, 0, -1, s[0:1]
	v_cmp_eq_u32_e64 s[0:1], s19, v11
	v_cndmask_b32_e64 v11, v13, v12, s[0:1]
	v_add_co_u32_e64 v12, s[0:1], 2, v2
	v_addc_co_u32_e64 v13, s[0:1], 0, v6, s[0:1]
	v_add_co_u32_e64 v14, s[0:1], 1, v2
	v_addc_co_u32_e64 v15, s[0:1], 0, v6, s[0:1]
	v_subb_co_u32_e32 v10, vcc, v8, v10, vcc
	v_cmp_ne_u32_e64 s[0:1], 0, v11
	v_cmp_le_u32_e32 vcc, s19, v10
	v_cndmask_b32_e64 v11, v15, v13, s[0:1]
	v_cndmask_b32_e64 v13, 0, -1, vcc
	v_cmp_le_u32_e32 vcc, s18, v9
	v_cndmask_b32_e64 v9, 0, -1, vcc
	v_cmp_eq_u32_e32 vcc, s19, v10
	v_cndmask_b32_e32 v9, v13, v9, vcc
	v_cmp_ne_u32_e32 vcc, 0, v9
	v_cndmask_b32_e32 v10, v6, v11, vcc
	v_cndmask_b32_e64 v6, v14, v12, s[0:1]
	v_cndmask_b32_e32 v9, v2, v6, vcc
.LBB0_4:                                ;   in Loop: Header=BB0_2 Depth=1
	s_andn2_saveexec_b64 s[0:1], s[20:21]
	s_cbranch_execz .LBB0_6
; %bb.5:                                ;   in Loop: Header=BB0_2 Depth=1
	v_cvt_f32_u32_e32 v2, s18
	s_sub_i32 s20, 0, s18
	v_rcp_iflag_f32_e32 v2, v2
	v_mul_f32_e32 v2, 0x4f7ffffe, v2
	v_cvt_u32_f32_e32 v2, v2
	v_mul_lo_u32 v6, s20, v2
	v_mul_hi_u32 v6, v2, v6
	v_add_u32_e32 v2, v2, v6
	v_mul_hi_u32 v2, v7, v2
	v_mul_lo_u32 v6, v2, s18
	v_add_u32_e32 v9, 1, v2
	v_sub_u32_e32 v6, v7, v6
	v_subrev_u32_e32 v10, s18, v6
	v_cmp_le_u32_e32 vcc, s18, v6
	v_cndmask_b32_e32 v6, v6, v10, vcc
	v_cndmask_b32_e32 v2, v2, v9, vcc
	v_add_u32_e32 v9, 1, v2
	v_cmp_le_u32_e32 vcc, s18, v6
	v_cndmask_b32_e32 v9, v2, v9, vcc
	v_mov_b32_e32 v10, v5
.LBB0_6:                                ;   in Loop: Header=BB0_2 Depth=1
	s_or_b64 exec, exec, s[0:1]
	v_mul_lo_u32 v2, v10, s18
	v_mul_lo_u32 v6, v9, s19
	v_mad_u64_u32 v[11:12], s[0:1], v9, s18, 0
	s_load_dwordx2 s[0:1], s[6:7], 0x0
	s_add_u32 s14, s14, 1
	v_add3_u32 v2, v12, v6, v2
	v_sub_co_u32_e32 v6, vcc, v7, v11
	v_subb_co_u32_e32 v2, vcc, v8, v2, vcc
	s_waitcnt lgkmcnt(0)
	v_mul_lo_u32 v2, s0, v2
	v_mul_lo_u32 v7, s1, v6
	v_mad_u64_u32 v[3:4], s[0:1], s0, v6, v[3:4]
	s_addc_u32 s15, s15, 0
	s_add_u32 s6, s6, 8
	v_add3_u32 v4, v7, v4, v2
	v_mov_b32_e32 v6, s10
	v_mov_b32_e32 v7, s11
	s_addc_u32 s7, s7, 0
	v_cmp_ge_u64_e32 vcc, s[14:15], v[6:7]
	s_add_u32 s16, s16, 8
	s_addc_u32 s17, s17, 0
	s_cbranch_vccnz .LBB0_8
; %bb.7:                                ;   in Loop: Header=BB0_2 Depth=1
	v_mov_b32_e32 v7, v9
	v_mov_b32_e32 v8, v10
	s_branch .LBB0_2
.LBB0_8:
	s_lshl_b64 s[0:1], s[10:11], 3
	s_add_u32 s0, s12, s0
	s_addc_u32 s1, s13, s1
	s_load_dwordx2 s[0:1], s[0:1], 0x0
	s_mov_b32 s6, 0xaaaaaaab
	v_mul_hi_u32 v5, v1, s6
	s_waitcnt lgkmcnt(0)
	v_mul_lo_u32 v6, s0, v10
	v_mul_lo_u32 v7, s1, v9
	v_mad_u64_u32 v[2:3], s[0:1], s0, v9, v[3:4]
	s_load_dwordx2 s[0:1], s[4:5], 0x20
	s_mov_b32 s4, 0xf0f0f10
	v_lshrrev_b32_e32 v4, 1, v5
	v_mul_hi_u32 v5, v0, s4
	v_lshl_add_u32 v4, v4, 1, v4
	v_sub_u32_e32 v1, v1, v4
	v_add3_u32 v3, v7, v3, v6
	v_mul_u32_u24_e32 v120, 0xef, v1
	v_mul_u32_u24_e32 v1, 17, v5
	s_waitcnt lgkmcnt(0)
	v_cmp_gt_u64_e32 vcc, s[0:1], v[9:10]
	v_sub_u32_e32 v68, v0, v1
	v_lshlrev_b64 v[70:71], 4, v[2:3]
	v_lshlrev_b32_e32 v122, 4, v120
	v_lshlrev_b32_e32 v117, 4, v68
	s_and_saveexec_b64 s[4:5], vcc
	s_cbranch_execz .LBB0_10
; %bb.9:
	v_mov_b32_e32 v69, 0
	v_mov_b32_e32 v0, s3
	v_add_co_u32_e64 v2, s[0:1], s2, v70
	v_addc_co_u32_e64 v3, s[0:1], v0, v71, s[0:1]
	v_lshlrev_b64 v[0:1], 4, v[68:69]
	v_add_co_u32_e64 v56, s[0:1], v2, v0
	v_addc_co_u32_e64 v57, s[0:1], v3, v1, s[0:1]
	global_load_dwordx4 v[0:3], v[56:57], off
	global_load_dwordx4 v[4:7], v[56:57], off offset:272
	global_load_dwordx4 v[8:11], v[56:57], off offset:544
	;; [unrolled: 1-line block ×13, first 2 shown]
	v_add3_u32 v56, 0, v122, v117
	s_waitcnt vmcnt(13)
	ds_write_b128 v56, v[0:3]
	s_waitcnt vmcnt(12)
	ds_write_b128 v56, v[4:7] offset:272
	s_waitcnt vmcnt(11)
	ds_write_b128 v56, v[8:11] offset:544
	;; [unrolled: 2-line block ×13, first 2 shown]
.LBB0_10:
	s_or_b64 exec, exec, s[4:5]
	v_add_u32_e32 v118, 0, v122
	v_add_u32_e32 v116, v118, v117
	;; [unrolled: 1-line block ×3, first 2 shown]
	s_waitcnt lgkmcnt(0)
	; wave barrier
	s_waitcnt lgkmcnt(0)
	v_add_u32_e32 v119, v121, v122
	ds_read_b128 v[0:3], v116
	ds_read_b128 v[40:43], v119 offset:224
	ds_read_b128 v[48:51], v119 offset:448
	;; [unrolled: 1-line block ×16, first 2 shown]
	v_cmp_gt_u32_e64 s[0:1], 14, v68
	s_waitcnt lgkmcnt(0)
	; wave barrier
	s_waitcnt lgkmcnt(0)
	s_and_saveexec_b64 s[4:5], s[0:1]
	s_cbranch_execz .LBB0_12
; %bb.11:
	v_add_f64 v[76:77], v[2:3], v[42:43]
	v_add_f64 v[78:79], v[0:1], v[40:41]
	;; [unrolled: 1-line block ×3, first 2 shown]
	v_add_f64 v[86:87], v[52:53], -v[24:25]
	v_add_f64 v[100:101], v[54:55], -v[26:27]
	s_mov_b32 s0, 0x7faef3
	s_mov_b32 s1, 0xbfef7484
	v_add_f64 v[80:81], v[38:39], v[34:35]
	v_add_f64 v[84:85], v[76:77], v[50:51]
	;; [unrolled: 1-line block ×3, first 2 shown]
	v_add_f64 v[74:75], v[36:37], -v[32:33]
	v_add_f64 v[72:73], v[36:37], v[32:33]
	v_add_f64 v[82:83], v[38:39], -v[34:35]
	v_add_f64 v[78:79], v[44:45], -v[28:29]
	v_add_f64 v[76:77], v[44:45], v[28:29]
	v_add_f64 v[104:105], v[62:63], v[22:23]
	;; [unrolled: 1-line block ×5, first 2 shown]
	v_add_f64 v[102:103], v[62:63], -v[22:23]
	s_mov_b32 s10, 0xacd6c6b4
	s_mov_b32 s6, 0x370991
	;; [unrolled: 1-line block ×4, first 2 shown]
	v_add_f64 v[112:113], v[92:93], v[66:67]
	v_add_f64 v[114:115], v[106:107], v[64:65]
	v_add_f64 v[90:91], v[60:61], -v[20:21]
	v_add_f64 v[88:89], v[60:61], v[20:21]
	v_add_f64 v[110:111], v[58:59], v[14:15]
	s_mov_b32 s12, 0x5d8e7cdc
	s_mov_b32 s14, 0x910ea3b9
	;; [unrolled: 1-line block ×3, first 2 shown]
	v_add_f64 v[112:113], v[112:113], v[62:63]
	v_add_f64 v[114:115], v[114:115], v[60:61]
	;; [unrolled: 1-line block ×3, first 2 shown]
	v_add_f64 v[60:61], v[58:59], -v[14:15]
	v_add_f64 v[58:59], v[48:49], -v[8:9]
	s_mov_b32 s15, 0xbfeb34fa
	v_add_f64 v[96:97], v[46:47], v[30:31]
	v_add_f64 v[94:95], v[46:47], -v[30:31]
	v_add_f64 v[123:124], v[112:113], v[54:55]
	v_add_f64 v[125:126], v[114:115], v[52:53]
	;; [unrolled: 1-line block ×3, first 2 shown]
	v_add_f64 v[54:55], v[40:41], -v[4:5]
	v_add_f64 v[52:53], v[40:41], v[4:5]
	v_add_f64 v[112:113], v[42:43], -v[6:7]
	v_add_f64 v[108:109], v[66:67], v[18:19]
	v_add_f64 v[106:107], v[66:67], -v[18:19]
	v_add_f64 v[40:41], v[123:124], v[46:47]
	v_add_f64 v[42:43], v[125:126], v[44:45]
	v_mul_f64 v[44:45], v[114:115], s[0:1]
	v_add_f64 v[66:67], v[56:57], -v[12:13]
	s_mov_b32 s16, 0x4363dd80
	s_mov_b32 s24, 0x75d4884
	;; [unrolled: 1-line block ×4, first 2 shown]
	v_add_f64 v[38:39], v[40:41], v[38:39]
	v_add_f64 v[36:37], v[42:43], v[36:37]
	v_mul_f64 v[40:41], v[62:63], s[6:7]
	v_fma_f64 v[42:43], v[54:55], s[10:11], v[44:45]
	s_mov_b32 s23, 0xbfc7851a
	s_mov_b32 s22, s10
	v_add_f64 v[92:93], v[64:65], -v[16:17]
	v_add_f64 v[50:51], v[50:51], -v[10:11]
	v_add_f64 v[34:35], v[38:39], v[34:35]
	v_add_f64 v[32:33], v[36:37], v[32:33]
	v_mul_f64 v[36:37], v[110:111], s[14:15]
	v_fma_f64 v[38:39], v[58:59], s[12:13], v[40:41]
	v_add_f64 v[42:43], v[2:3], v[42:43]
	s_mov_b32 s42, 0x2a9d6da3
	s_mov_b32 s18, 0x6ed5f1bb
	;; [unrolled: 1-line block ×3, first 2 shown]
	v_add_f64 v[30:31], v[34:35], v[30:31]
	v_add_f64 v[28:29], v[32:33], v[28:29]
	v_mul_f64 v[32:33], v[108:109], s[24:25]
	v_fma_f64 v[34:35], v[66:67], s[16:17], v[36:37]
	s_mov_b32 s19, 0xbfe348c8
	s_mov_b32 s29, 0x3fd71e95
	;; [unrolled: 1-line block ×3, first 2 shown]
	v_add_f64 v[48:49], v[48:49], v[8:9]
	v_add_f64 v[26:27], v[30:31], v[26:27]
	v_add_f64 v[24:25], v[28:29], v[24:25]
	v_add_f64 v[28:29], v[38:39], v[42:43]
	v_mul_f64 v[38:39], v[112:113], s[22:23]
	v_mul_f64 v[30:31], v[104:105], s[18:19]
	v_fma_f64 v[42:43], v[92:93], s[42:43], v[32:33]
	s_mov_b32 s20, 0x6c9a05f6
	s_mov_b32 s21, 0x3fe9895b
	v_add_f64 v[22:23], v[26:27], v[22:23]
	v_add_f64 v[20:21], v[24:25], v[20:21]
	;; [unrolled: 1-line block ×3, first 2 shown]
	v_mul_f64 v[26:27], v[50:51], s[28:29]
	v_fma_f64 v[28:29], v[52:53], s[0:1], v[38:39]
	s_mov_b32 s37, 0xbfe0d888
	s_mov_b32 s36, s16
	v_add_f64 v[64:65], v[64:65], v[16:17]
	v_add_f64 v[56:57], v[56:57], v[12:13]
	v_fma_f64 v[34:35], v[90:91], s[20:21], v[30:31]
	v_add_f64 v[18:19], v[22:23], v[18:19]
	v_add_f64 v[16:17], v[20:21], v[16:17]
	;; [unrolled: 1-line block ×3, first 2 shown]
	v_fma_f64 v[22:23], v[48:49], s[6:7], v[26:27]
	v_add_f64 v[24:25], v[0:1], v[28:29]
	v_mul_f64 v[28:29], v[60:61], s[36:37]
	s_mov_b32 s26, 0x2b2883cd
	s_mov_b32 s27, 0x3fdc86fa
	;; [unrolled: 1-line block ×4, first 2 shown]
	v_add_f64 v[14:15], v[18:19], v[14:15]
	v_add_f64 v[12:13], v[16:17], v[12:13]
	;; [unrolled: 1-line block ×3, first 2 shown]
	v_mul_f64 v[18:19], v[98:99], s[26:27]
	v_add_f64 v[20:21], v[22:23], v[24:25]
	v_fma_f64 v[22:23], v[56:57], s[14:15], v[28:29]
	v_mul_f64 v[24:25], v[106:107], s[40:41]
	s_mov_b32 s30, 0x7c9e640b
	s_mov_b32 s34, 0xc61f0d01
	;; [unrolled: 1-line block ×6, first 2 shown]
	v_fma_f64 v[34:35], v[86:87], s[30:31], v[18:19]
	v_mul_f64 v[42:43], v[96:97], s[34:35]
	v_add_f64 v[20:21], v[22:23], v[20:21]
	v_fma_f64 v[22:23], v[64:65], s[24:25], v[24:25]
	v_mul_f64 v[46:47], v[102:103], s[46:47]
	s_mov_b32 s38, 0x923c349f
	s_mov_b32 s39, 0x3feec746
	v_add_f64 v[10:11], v[14:15], v[10:11]
	v_add_f64 v[14:15], v[34:35], v[16:17]
	v_fma_f64 v[16:17], v[78:79], s[38:39], v[42:43]
	s_mov_b32 s49, 0x3feca52d
	v_add_f64 v[20:21], v[22:23], v[20:21]
	v_fma_f64 v[22:23], v[54:55], s[22:23], v[44:45]
	v_fma_f64 v[34:35], v[88:89], s[18:19], v[46:47]
	s_mov_b32 s48, s30
	v_mul_f64 v[44:45], v[100:101], s[48:49]
	v_add_f64 v[8:9], v[12:13], v[8:9]
	v_add_f64 v[6:7], v[10:11], v[6:7]
	v_fma_f64 v[10:11], v[58:59], s[28:29], v[40:41]
	v_add_f64 v[14:15], v[16:17], v[14:15]
	v_add_f64 v[12:13], v[2:3], v[22:23]
	;; [unrolled: 1-line block ×3, first 2 shown]
	v_fma_f64 v[20:21], v[52:53], s[0:1], -v[38:39]
	v_fma_f64 v[22:23], v[84:85], s[26:27], v[44:45]
	v_fma_f64 v[26:27], v[48:49], s[6:7], -v[26:27]
	s_mov_b32 s50, 0x3259b75e
	s_mov_b32 s51, 0x3fb79ee6
	;; [unrolled: 1-line block ×3, first 2 shown]
	v_add_f64 v[10:11], v[10:11], v[12:13]
	v_fma_f64 v[12:13], v[66:67], s[36:37], v[36:37]
	v_add_f64 v[20:21], v[0:1], v[20:21]
	v_add_f64 v[16:17], v[22:23], v[16:17]
	v_mul_f64 v[22:23], v[80:81], s[50:51]
	s_mov_b32 s45, 0xbfeec746
	s_mov_b32 s44, s38
	;; [unrolled: 1-line block ×3, first 2 shown]
	v_mul_f64 v[34:35], v[94:95], s[44:45]
	v_add_f64 v[10:11], v[12:13], v[10:11]
	v_fma_f64 v[12:13], v[92:93], s[40:41], v[32:33]
	v_add_f64 v[20:21], v[26:27], v[20:21]
	v_fma_f64 v[26:27], v[56:57], s[14:15], -v[28:29]
	v_fma_f64 v[28:29], v[74:75], s[54:55], v[22:23]
	v_mul_f64 v[32:33], v[114:115], s[14:15]
	v_add_f64 v[4:5], v[8:9], v[4:5]
	v_fma_f64 v[24:25], v[64:65], s[24:25], -v[24:25]
	v_fma_f64 v[36:37], v[76:77], s[34:35], v[34:35]
	v_add_f64 v[8:9], v[12:13], v[10:11]
	v_fma_f64 v[12:13], v[90:91], s[46:47], v[30:31]
	v_add_f64 v[20:21], v[26:27], v[20:21]
	v_add_f64 v[10:11], v[28:29], v[14:15]
	v_fma_f64 v[14:15], v[54:55], s[16:17], v[32:33]
	v_mul_f64 v[26:27], v[62:63], s[26:27]
	v_mul_f64 v[28:29], v[110:111], s[50:51]
	v_add_f64 v[16:17], v[36:37], v[16:17]
	v_mul_f64 v[36:37], v[112:113], s[36:37]
	v_add_f64 v[8:9], v[12:13], v[8:9]
	v_fma_f64 v[12:13], v[86:87], s[48:49], v[18:19]
	v_add_f64 v[18:19], v[24:25], v[20:21]
	v_fma_f64 v[20:21], v[88:89], s[18:19], -v[46:47]
	v_add_f64 v[14:15], v[2:3], v[14:15]
	v_fma_f64 v[24:25], v[58:59], s[30:31], v[26:27]
	s_mov_b32 s53, 0x3fefdd0d
	s_mov_b32 s52, s54
	v_mul_f64 v[30:31], v[82:83], s[52:53]
	v_add_f64 v[8:9], v[12:13], v[8:9]
	v_mul_f64 v[38:39], v[108:109], s[18:19]
	v_add_f64 v[12:13], v[20:21], v[18:19]
	v_fma_f64 v[18:19], v[84:85], s[26:27], -v[44:45]
	v_fma_f64 v[20:21], v[78:79], s[44:45], v[42:43]
	v_add_f64 v[14:15], v[24:25], v[14:15]
	v_fma_f64 v[24:25], v[66:67], s[52:53], v[28:29]
	v_fma_f64 v[42:43], v[52:53], s[14:15], v[36:37]
	v_mul_f64 v[44:45], v[50:51], s[48:49]
	v_fma_f64 v[40:41], v[72:73], s[50:51], v[30:31]
	v_mul_f64 v[123:124], v[60:61], s[54:55]
	v_add_f64 v[12:13], v[18:19], v[12:13]
	v_fma_f64 v[18:19], v[76:77], s[34:35], -v[34:35]
	v_add_f64 v[20:21], v[20:21], v[8:9]
	v_add_f64 v[14:15], v[24:25], v[14:15]
	v_fma_f64 v[24:25], v[92:93], s[46:47], v[38:39]
	v_mul_f64 v[34:35], v[104:105], s[6:7]
	v_add_f64 v[42:43], v[0:1], v[42:43]
	v_fma_f64 v[46:47], v[48:49], s[26:27], v[44:45]
	v_add_f64 v[8:9], v[40:41], v[16:17]
	v_add_f64 v[12:13], v[18:19], v[12:13]
	v_fma_f64 v[18:19], v[74:75], s[52:53], v[22:23]
	v_fma_f64 v[22:23], v[72:73], s[50:51], -v[30:31]
	v_add_f64 v[16:17], v[24:25], v[14:15]
	v_fma_f64 v[24:25], v[90:91], s[28:29], v[34:35]
	v_fma_f64 v[40:41], v[56:57], s[50:51], v[123:124]
	v_add_f64 v[30:31], v[46:47], v[42:43]
	v_mul_f64 v[42:43], v[106:107], s[20:21]
	v_fma_f64 v[26:27], v[58:59], s[48:49], v[26:27]
	v_add_f64 v[14:15], v[18:19], v[20:21]
	v_add_f64 v[12:13], v[22:23], v[12:13]
	v_fma_f64 v[18:19], v[54:55], s[36:37], v[32:33]
	v_fma_f64 v[22:23], v[52:53], s[14:15], -v[36:37]
	v_mul_f64 v[20:21], v[98:99], s[0:1]
	v_add_f64 v[16:17], v[24:25], v[16:17]
	v_add_f64 v[24:25], v[40:41], v[30:31]
	v_fma_f64 v[30:31], v[64:65], s[18:19], v[42:43]
	v_mul_f64 v[32:33], v[102:103], s[12:13]
	v_fma_f64 v[40:41], v[48:49], s[26:27], -v[44:45]
	v_add_f64 v[18:19], v[2:3], v[18:19]
	v_add_f64 v[22:23], v[0:1], v[22:23]
	v_fma_f64 v[36:37], v[86:87], s[10:11], v[20:21]
	v_mul_f64 v[44:45], v[96:97], s[24:25]
	v_mul_f64 v[46:47], v[100:101], s[22:23]
	v_add_f64 v[24:25], v[30:31], v[24:25]
	v_fma_f64 v[30:31], v[88:89], s[6:7], v[32:33]
	v_mul_f64 v[125:126], v[80:81], s[34:35]
	v_add_f64 v[18:19], v[26:27], v[18:19]
	v_fma_f64 v[26:27], v[66:67], s[54:55], v[28:29]
	v_add_f64 v[22:23], v[40:41], v[22:23]
	v_fma_f64 v[28:29], v[56:57], s[50:51], -v[123:124]
	v_add_f64 v[16:17], v[36:37], v[16:17]
	v_fma_f64 v[36:37], v[78:79], s[42:43], v[44:45]
	v_add_f64 v[24:25], v[30:31], v[24:25]
	v_mul_f64 v[30:31], v[114:115], s[18:19]
	v_fma_f64 v[40:41], v[84:85], s[0:1], v[46:47]
	v_add_f64 v[18:19], v[26:27], v[18:19]
	v_fma_f64 v[26:27], v[92:93], s[20:21], v[38:39]
	v_add_f64 v[22:23], v[28:29], v[22:23]
	v_fma_f64 v[28:29], v[64:65], s[18:19], -v[42:43]
	v_mul_f64 v[38:39], v[94:95], s[40:41]
	v_add_f64 v[16:17], v[36:37], v[16:17]
	v_fma_f64 v[36:37], v[54:55], s[20:21], v[30:31]
	v_mul_f64 v[42:43], v[62:63], s[34:35]
	v_add_f64 v[24:25], v[40:41], v[24:25]
	v_mul_f64 v[40:41], v[112:113], s[46:47]
	v_add_f64 v[18:19], v[26:27], v[18:19]
	v_add_f64 v[22:23], v[28:29], v[22:23]
	v_fma_f64 v[28:29], v[88:89], s[6:7], -v[32:33]
	v_fma_f64 v[26:27], v[90:91], s[12:13], v[34:35]
	v_fma_f64 v[34:35], v[76:77], s[24:25], v[38:39]
	v_add_f64 v[32:33], v[2:3], v[36:37]
	v_fma_f64 v[36:37], v[58:59], s[44:45], v[42:43]
	v_mul_f64 v[123:124], v[110:111], s[6:7]
	v_mul_f64 v[127:128], v[50:51], s[38:39]
	v_fma_f64 v[20:21], v[86:87], s[22:23], v[20:21]
	v_add_f64 v[22:23], v[28:29], v[22:23]
	v_fma_f64 v[28:29], v[84:85], s[0:1], -v[46:47]
	v_fma_f64 v[46:47], v[52:53], s[18:19], v[40:41]
	v_add_f64 v[18:19], v[26:27], v[18:19]
	v_mul_f64 v[26:27], v[82:83], s[44:45]
	v_add_f64 v[32:33], v[36:37], v[32:33]
	v_fma_f64 v[36:37], v[66:67], s[28:29], v[123:124]
	v_mul_f64 v[129:130], v[108:109], s[14:15]
	v_add_f64 v[24:25], v[34:35], v[24:25]
	v_fma_f64 v[34:35], v[74:75], s[38:39], v[125:126]
	v_add_f64 v[46:47], v[0:1], v[46:47]
	v_fma_f64 v[131:132], v[48:49], s[34:35], v[127:128]
	v_mul_f64 v[133:134], v[60:61], s[12:13]
	v_add_f64 v[20:21], v[20:21], v[18:19]
	v_fma_f64 v[135:136], v[72:73], s[34:35], v[26:27]
	v_add_f64 v[22:23], v[28:29], v[22:23]
	v_add_f64 v[28:29], v[36:37], v[32:33]
	v_fma_f64 v[32:33], v[92:93], s[16:17], v[129:130]
	v_mul_f64 v[36:37], v[104:105], s[50:51]
	v_add_f64 v[18:19], v[34:35], v[16:17]
	v_add_f64 v[34:35], v[131:132], v[46:47]
	v_fma_f64 v[46:47], v[56:57], s[6:7], v[133:134]
	v_mul_f64 v[131:132], v[106:107], s[36:37]
	v_fma_f64 v[44:45], v[78:79], s[40:41], v[44:45]
	v_fma_f64 v[38:39], v[76:77], s[24:25], -v[38:39]
	v_add_f64 v[16:17], v[135:136], v[24:25]
	v_add_f64 v[24:25], v[32:33], v[28:29]
	v_fma_f64 v[28:29], v[90:91], s[54:55], v[36:37]
	v_mul_f64 v[135:136], v[102:103], s[52:53]
	v_add_f64 v[34:35], v[46:47], v[34:35]
	v_fma_f64 v[46:47], v[64:65], s[14:15], v[131:132]
	v_mul_f64 v[32:33], v[98:99], s[24:25]
	v_add_f64 v[20:21], v[44:45], v[20:21]
	v_add_f64 v[38:39], v[38:39], v[22:23]
	v_fma_f64 v[22:23], v[74:75], s[44:45], v[125:126]
	v_fma_f64 v[30:31], v[54:55], s[46:47], v[30:31]
	v_add_f64 v[24:25], v[28:29], v[24:25]
	v_fma_f64 v[40:41], v[52:53], s[18:19], -v[40:41]
	v_add_f64 v[28:29], v[46:47], v[34:35]
	v_fma_f64 v[34:35], v[88:89], s[50:51], v[135:136]
	v_mul_f64 v[44:45], v[100:101], s[42:43]
	v_fma_f64 v[46:47], v[86:87], s[40:41], v[32:33]
	v_fma_f64 v[42:43], v[58:59], s[38:39], v[42:43]
	v_add_f64 v[30:31], v[2:3], v[30:31]
	v_mul_f64 v[125:126], v[96:97], s[0:1]
	v_add_f64 v[22:23], v[22:23], v[20:21]
	v_add_f64 v[40:41], v[0:1], v[40:41]
	;; [unrolled: 1-line block ×3, first 2 shown]
	v_fma_f64 v[34:35], v[48:49], s[34:35], -v[127:128]
	v_fma_f64 v[26:27], v[72:73], s[34:35], -v[26:27]
	v_fma_f64 v[28:29], v[84:85], s[24:25], v[44:45]
	v_add_f64 v[30:31], v[42:43], v[30:31]
	v_fma_f64 v[42:43], v[66:67], s[12:13], v[123:124]
	v_add_f64 v[24:25], v[46:47], v[24:25]
	v_fma_f64 v[46:47], v[78:79], s[10:11], v[125:126]
	v_mul_f64 v[123:124], v[80:81], s[26:27]
	v_add_f64 v[34:35], v[34:35], v[40:41]
	v_fma_f64 v[40:41], v[56:57], s[6:7], -v[133:134]
	v_add_f64 v[28:29], v[28:29], v[20:21]
	v_add_f64 v[20:21], v[26:27], v[38:39]
	v_add_f64 v[30:31], v[42:43], v[30:31]
	v_fma_f64 v[42:43], v[92:93], s[36:37], v[129:130]
	v_add_f64 v[24:25], v[46:47], v[24:25]
	v_fma_f64 v[46:47], v[74:75], s[30:31], v[123:124]
	v_mul_f64 v[129:130], v[114:115], s[34:35]
	v_add_f64 v[34:35], v[40:41], v[34:35]
	v_fma_f64 v[38:39], v[64:65], s[14:15], -v[131:132]
	v_fma_f64 v[36:37], v[90:91], s[52:53], v[36:37]
	v_mul_f64 v[40:41], v[62:63], s[14:15]
	v_add_f64 v[30:31], v[42:43], v[30:31]
	v_mul_f64 v[127:128], v[94:95], s[22:23]
	v_add_f64 v[26:27], v[46:47], v[24:25]
	v_fma_f64 v[24:25], v[54:55], s[38:39], v[129:130]
	v_fma_f64 v[46:47], v[88:89], s[50:51], -v[135:136]
	v_add_f64 v[34:35], v[38:39], v[34:35]
	v_mul_f64 v[38:39], v[112:113], s[44:45]
	v_fma_f64 v[32:33], v[86:87], s[42:43], v[32:33]
	v_add_f64 v[30:31], v[36:37], v[30:31]
	v_fma_f64 v[36:37], v[58:59], s[36:37], v[40:41]
	v_mul_f64 v[131:132], v[110:111], s[24:25]
	v_add_f64 v[24:25], v[2:3], v[24:25]
	v_fma_f64 v[44:45], v[84:85], s[24:25], -v[44:45]
	v_add_f64 v[34:35], v[46:47], v[34:35]
	v_fma_f64 v[133:134], v[76:77], s[0:1], v[127:128]
	v_mul_f64 v[42:43], v[82:83], s[48:49]
	v_fma_f64 v[135:136], v[52:53], s[34:35], v[38:39]
	v_mul_f64 v[137:138], v[50:51], s[16:17]
	v_add_f64 v[30:31], v[32:33], v[30:31]
	v_add_f64 v[24:25], v[36:37], v[24:25]
	v_fma_f64 v[32:33], v[66:67], s[42:43], v[131:132]
	v_mul_f64 v[36:37], v[108:109], s[26:27]
	v_add_f64 v[34:35], v[44:45], v[34:35]
	v_fma_f64 v[44:45], v[76:77], s[0:1], -v[127:128]
	v_add_f64 v[28:29], v[133:134], v[28:29]
	v_fma_f64 v[133:134], v[72:73], s[26:27], v[42:43]
	v_add_f64 v[46:47], v[0:1], v[135:136]
	v_fma_f64 v[135:136], v[48:49], s[14:15], v[137:138]
	v_mul_f64 v[139:140], v[60:61], s[40:41]
	v_fma_f64 v[125:126], v[78:79], s[22:23], v[125:126]
	v_add_f64 v[24:25], v[32:33], v[24:25]
	v_fma_f64 v[32:33], v[92:93], s[48:49], v[36:37]
	v_add_f64 v[34:35], v[44:45], v[34:35]
	v_fma_f64 v[42:43], v[72:73], s[26:27], -v[42:43]
	v_mul_f64 v[127:128], v[104:105], s[0:1]
	v_add_f64 v[46:47], v[135:136], v[46:47]
	v_fma_f64 v[135:136], v[56:57], s[24:25], v[139:140]
	v_mul_f64 v[141:142], v[106:107], s[30:31]
	v_add_f64 v[30:31], v[125:126], v[30:31]
	v_fma_f64 v[44:45], v[74:75], s[48:49], v[123:124]
	v_add_f64 v[32:33], v[32:33], v[24:25]
	v_add_f64 v[24:25], v[133:134], v[28:29]
	;; [unrolled: 1-line block ×3, first 2 shown]
	v_fma_f64 v[34:35], v[54:55], s[44:45], v[129:130]
	v_fma_f64 v[123:124], v[90:91], s[10:11], v[127:128]
	v_add_f64 v[46:47], v[135:136], v[46:47]
	v_fma_f64 v[125:126], v[64:65], s[26:27], v[141:142]
	v_mul_f64 v[133:134], v[102:103], s[22:23]
	v_add_f64 v[30:31], v[44:45], v[30:31]
	v_mul_f64 v[44:45], v[98:99], s[50:51]
	v_fma_f64 v[38:39], v[52:53], s[34:35], -v[38:39]
	v_fma_f64 v[40:41], v[58:59], s[16:17], v[40:41]
	v_add_f64 v[34:35], v[2:3], v[34:35]
	v_add_f64 v[32:33], v[123:124], v[32:33]
	;; [unrolled: 1-line block ×3, first 2 shown]
	v_fma_f64 v[46:47], v[88:89], s[0:1], v[133:134]
	v_mul_f64 v[123:124], v[100:101], s[52:53]
	v_fma_f64 v[125:126], v[86:87], s[54:55], v[44:45]
	v_mul_f64 v[129:130], v[96:97], s[6:7]
	v_fma_f64 v[135:136], v[48:49], s[14:15], -v[137:138]
	v_add_f64 v[38:39], v[0:1], v[38:39]
	v_add_f64 v[34:35], v[40:41], v[34:35]
	v_fma_f64 v[40:41], v[66:67], s[40:41], v[131:132]
	v_add_f64 v[42:43], v[46:47], v[42:43]
	v_fma_f64 v[46:47], v[84:85], s[50:51], v[123:124]
	v_mul_f64 v[137:138], v[94:95], s[12:13]
	v_add_f64 v[32:33], v[125:126], v[32:33]
	v_fma_f64 v[125:126], v[78:79], s[28:29], v[129:130]
	v_add_f64 v[38:39], v[135:136], v[38:39]
	v_fma_f64 v[131:132], v[56:57], s[24:25], -v[139:140]
	v_add_f64 v[34:35], v[40:41], v[34:35]
	v_fma_f64 v[36:37], v[92:93], s[30:31], v[36:37]
	v_add_f64 v[42:43], v[46:47], v[42:43]
	v_fma_f64 v[46:47], v[76:77], s[6:7], v[137:138]
	v_mul_f64 v[135:136], v[80:81], s[18:19]
	v_add_f64 v[32:33], v[125:126], v[32:33]
	v_mul_f64 v[125:126], v[114:115], s[50:51]
	v_add_f64 v[38:39], v[131:132], v[38:39]
	v_fma_f64 v[40:41], v[64:65], s[26:27], -v[141:142]
	v_add_f64 v[36:37], v[36:37], v[34:35]
	v_fma_f64 v[127:128], v[90:91], s[22:23], v[127:128]
	v_add_f64 v[42:43], v[46:47], v[42:43]
	v_fma_f64 v[46:47], v[74:75], s[20:21], v[135:136]
	v_mul_f64 v[131:132], v[82:83], s[46:47]
	v_fma_f64 v[139:140], v[54:55], s[52:53], v[125:126]
	v_mul_f64 v[141:142], v[62:63], s[0:1]
	v_add_f64 v[38:39], v[40:41], v[38:39]
	v_fma_f64 v[40:41], v[88:89], s[0:1], -v[133:134]
	v_add_f64 v[36:37], v[127:128], v[36:37]
	v_fma_f64 v[44:45], v[86:87], s[52:53], v[44:45]
	v_add_f64 v[34:35], v[46:47], v[32:33]
	v_fma_f64 v[32:33], v[72:73], s[18:19], v[131:132]
	;; [unrolled: 2-line block ×3, first 2 shown]
	v_mul_f64 v[139:140], v[110:111], s[34:35]
	v_add_f64 v[38:39], v[40:41], v[38:39]
	v_fma_f64 v[40:41], v[84:85], s[50:51], -v[123:124]
	v_mul_f64 v[123:124], v[112:113], s[54:55]
	v_add_f64 v[36:37], v[44:45], v[36:37]
	v_fma_f64 v[44:45], v[78:79], s[12:13], v[129:130]
	v_add_f64 v[32:33], v[32:33], v[42:43]
	v_add_f64 v[42:43], v[133:134], v[46:47]
	v_mul_f64 v[129:130], v[50:51], s[22:23]
	v_fma_f64 v[133:134], v[76:77], s[6:7], -v[137:138]
	v_add_f64 v[38:39], v[40:41], v[38:39]
	v_fma_f64 v[40:41], v[52:53], s[50:51], v[123:124]
	v_mul_f64 v[143:144], v[60:61], s[38:39]
	v_add_f64 v[36:37], v[44:45], v[36:37]
	v_fma_f64 v[44:45], v[74:75], s[46:47], v[135:136]
	v_fma_f64 v[46:47], v[66:67], s[44:45], v[139:140]
	;; [unrolled: 1-line block ×3, first 2 shown]
	v_mul_f64 v[127:128], v[108:109], s[6:7]
	v_add_f64 v[133:134], v[133:134], v[38:39]
	v_add_f64 v[40:41], v[0:1], v[40:41]
	v_mul_f64 v[137:138], v[104:105], s[26:27]
	v_fma_f64 v[129:130], v[48:49], s[0:1], -v[129:130]
	v_add_f64 v[38:39], v[44:45], v[36:37]
	v_fma_f64 v[36:37], v[54:55], s[54:55], v[125:126]
	v_fma_f64 v[44:45], v[52:53], s[50:51], -v[123:124]
	v_fma_f64 v[123:124], v[56:57], s[34:35], v[143:144]
	v_mul_f64 v[125:126], v[106:107], s[28:29]
	v_add_f64 v[40:41], v[135:136], v[40:41]
	v_fma_f64 v[135:136], v[58:59], s[22:23], v[141:142]
	v_add_f64 v[42:43], v[46:47], v[42:43]
	v_fma_f64 v[46:47], v[92:93], s[12:13], v[127:128]
	v_add_f64 v[36:37], v[2:3], v[36:37]
	v_add_f64 v[44:45], v[0:1], v[44:45]
	v_mul_f64 v[141:142], v[102:103], s[30:31]
	v_fma_f64 v[131:132], v[72:73], s[18:19], -v[131:132]
	v_add_f64 v[40:41], v[123:124], v[40:41]
	v_fma_f64 v[123:124], v[64:65], s[6:7], v[125:126]
	v_fma_f64 v[127:128], v[92:93], s[28:29], v[127:128]
	v_add_f64 v[42:43], v[46:47], v[42:43]
	v_add_f64 v[36:37], v[135:136], v[36:37]
	v_fma_f64 v[135:136], v[66:67], s[38:39], v[139:140]
	v_fma_f64 v[46:47], v[90:91], s[48:49], v[137:138]
	v_add_f64 v[44:45], v[129:130], v[44:45]
	v_fma_f64 v[129:130], v[56:57], s[34:35], -v[143:144]
	v_add_f64 v[40:41], v[123:124], v[40:41]
	v_fma_f64 v[123:124], v[88:89], s[26:27], v[141:142]
	v_mul_f64 v[139:140], v[100:101], s[36:37]
	v_fma_f64 v[125:126], v[64:65], s[6:7], -v[125:126]
	v_add_f64 v[135:136], v[135:136], v[36:37]
	v_add_f64 v[42:43], v[46:47], v[42:43]
	v_mul_f64 v[46:47], v[98:99], s[14:15]
	v_add_f64 v[44:45], v[129:130], v[44:45]
	v_add_f64 v[36:37], v[131:132], v[133:134]
	v_add_f64 v[40:41], v[123:124], v[40:41]
	v_fma_f64 v[123:124], v[84:85], s[14:15], v[139:140]
	v_fma_f64 v[131:132], v[90:91], s[30:31], v[137:138]
	v_add_f64 v[127:128], v[127:128], v[135:136]
	v_mul_f64 v[147:148], v[96:97], s[18:19]
	v_fma_f64 v[145:146], v[86:87], s[16:17], v[46:47]
	v_mul_f64 v[129:130], v[94:95], s[20:21]
	v_add_f64 v[44:45], v[125:126], v[44:45]
	v_fma_f64 v[125:126], v[88:89], s[26:27], -v[141:142]
	v_add_f64 v[40:41], v[123:124], v[40:41]
	v_mul_f64 v[123:124], v[114:115], s[26:27]
	v_add_f64 v[127:128], v[131:132], v[127:128]
	v_fma_f64 v[46:47], v[86:87], s[36:37], v[46:47]
	v_add_f64 v[42:43], v[145:146], v[42:43]
	v_fma_f64 v[143:144], v[78:79], s[46:47], v[147:148]
	v_fma_f64 v[133:134], v[76:77], s[18:19], v[129:130]
	v_mul_f64 v[135:136], v[80:81], s[24:25]
	v_add_f64 v[44:45], v[125:126], v[44:45]
	v_fma_f64 v[125:126], v[84:85], s[14:15], -v[139:140]
	v_fma_f64 v[131:132], v[54:55], s[48:49], v[123:124]
	v_mul_f64 v[139:140], v[62:63], s[18:19]
	v_add_f64 v[46:47], v[46:47], v[127:128]
	v_fma_f64 v[127:128], v[78:79], s[20:21], v[147:148]
	v_add_f64 v[42:43], v[143:144], v[42:43]
	v_mul_f64 v[137:138], v[82:83], s[40:41]
	v_add_f64 v[40:41], v[133:134], v[40:41]
	v_fma_f64 v[133:134], v[74:75], s[42:43], v[135:136]
	v_add_f64 v[44:45], v[125:126], v[44:45]
	v_add_f64 v[125:126], v[2:3], v[131:132]
	v_fma_f64 v[131:132], v[58:59], s[20:21], v[139:140]
	v_mul_f64 v[143:144], v[110:111], s[0:1]
	v_fma_f64 v[129:130], v[76:77], s[18:19], -v[129:130]
	v_mul_f64 v[145:146], v[112:113], s[30:31]
	v_add_f64 v[46:47], v[127:128], v[46:47]
	v_fma_f64 v[127:128], v[74:75], s[40:41], v[135:136]
	v_fma_f64 v[141:142], v[72:73], s[24:25], v[137:138]
	v_add_f64 v[42:43], v[133:134], v[42:43]
	v_add_f64 v[125:126], v[131:132], v[125:126]
	v_fma_f64 v[131:132], v[66:67], s[22:23], v[143:144]
	v_add_f64 v[44:45], v[129:130], v[44:45]
	v_fma_f64 v[129:130], v[52:53], s[26:27], v[145:146]
	v_mul_f64 v[133:134], v[50:51], s[46:47]
	v_add_f64 v[46:47], v[127:128], v[46:47]
	v_fma_f64 v[123:124], v[54:55], s[30:31], v[123:124]
	v_fma_f64 v[127:128], v[52:53], s[26:27], -v[145:146]
	v_add_f64 v[40:41], v[141:142], v[40:41]
	v_add_f64 v[125:126], v[131:132], v[125:126]
	v_mul_f64 v[141:142], v[60:61], s[10:11]
	v_add_f64 v[129:130], v[0:1], v[129:130]
	v_fma_f64 v[131:132], v[48:49], s[18:19], v[133:134]
	v_fma_f64 v[139:140], v[58:59], s[46:47], v[139:140]
	v_add_f64 v[123:124], v[2:3], v[123:124]
	v_fma_f64 v[133:134], v[48:49], s[18:19], -v[133:134]
	v_add_f64 v[127:128], v[0:1], v[127:128]
	v_fma_f64 v[135:136], v[72:73], s[24:25], -v[137:138]
	v_mul_f64 v[137:138], v[108:109], s[34:35]
	v_mul_f64 v[149:150], v[106:107], s[38:39]
	v_add_f64 v[129:130], v[131:132], v[129:130]
	v_fma_f64 v[131:132], v[56:57], s[0:1], v[141:142]
	v_add_f64 v[123:124], v[139:140], v[123:124]
	v_fma_f64 v[139:140], v[66:67], s[10:11], v[143:144]
	v_add_f64 v[127:128], v[133:134], v[127:128]
	v_fma_f64 v[133:134], v[56:57], s[0:1], -v[141:142]
	v_fma_f64 v[145:146], v[92:93], s[44:45], v[137:138]
	v_mul_f64 v[147:148], v[104:105], s[24:25]
	v_mul_f64 v[143:144], v[102:103], s[40:41]
	v_add_f64 v[129:130], v[131:132], v[129:130]
	v_fma_f64 v[131:132], v[64:65], s[34:35], v[149:150]
	v_add_f64 v[123:124], v[139:140], v[123:124]
	v_fma_f64 v[137:138], v[92:93], s[38:39], v[137:138]
	v_add_f64 v[127:128], v[133:134], v[127:128]
	v_fma_f64 v[133:134], v[64:65], s[34:35], -v[149:150]
	v_add_f64 v[125:126], v[145:146], v[125:126]
	v_fma_f64 v[141:142], v[90:91], s[42:43], v[147:148]
	v_mul_f64 v[145:146], v[98:99], s[6:7]
	v_add_f64 v[129:130], v[131:132], v[129:130]
	v_fma_f64 v[131:132], v[88:89], s[24:25], v[143:144]
	v_mul_f64 v[139:140], v[100:101], s[12:13]
	v_add_f64 v[123:124], v[137:138], v[123:124]
	v_fma_f64 v[137:138], v[90:91], s[40:41], v[147:148]
	v_add_f64 v[127:128], v[133:134], v[127:128]
	v_fma_f64 v[133:134], v[88:89], s[24:25], -v[143:144]
	v_add_f64 v[125:126], v[141:142], v[125:126]
	v_fma_f64 v[141:142], v[86:87], s[28:29], v[145:146]
	v_mul_f64 v[143:144], v[96:97], s[50:51]
	v_add_f64 v[129:130], v[131:132], v[129:130]
	v_fma_f64 v[131:132], v[84:85], s[6:7], v[139:140]
	v_mul_f64 v[147:148], v[94:95], s[54:55]
	v_add_f64 v[123:124], v[137:138], v[123:124]
	v_fma_f64 v[137:138], v[86:87], s[12:13], v[145:146]
	v_add_f64 v[127:128], v[133:134], v[127:128]
	v_fma_f64 v[133:134], v[84:85], s[6:7], -v[139:140]
	v_add_f64 v[125:126], v[141:142], v[125:126]
	v_fma_f64 v[139:140], v[78:79], s[52:53], v[143:144]
	v_add_f64 v[129:130], v[131:132], v[129:130]
	v_fma_f64 v[131:132], v[76:77], s[50:51], v[147:148]
	v_mul_f64 v[141:142], v[80:81], s[14:15]
	v_mul_f64 v[145:146], v[82:83], s[36:37]
	v_add_f64 v[123:124], v[137:138], v[123:124]
	v_fma_f64 v[137:138], v[78:79], s[54:55], v[143:144]
	v_add_f64 v[127:128], v[133:134], v[127:128]
	v_fma_f64 v[133:134], v[76:77], s[50:51], -v[147:148]
	v_add_f64 v[44:45], v[135:136], v[44:45]
	v_mul_f64 v[135:136], v[114:115], s[24:25]
	v_add_f64 v[125:126], v[139:140], v[125:126]
	v_add_f64 v[129:130], v[131:132], v[129:130]
	v_fma_f64 v[131:132], v[74:75], s[16:17], v[141:142]
	v_fma_f64 v[139:140], v[72:73], s[14:15], v[145:146]
	v_add_f64 v[137:138], v[137:138], v[123:124]
	v_add_f64 v[127:128], v[133:134], v[127:128]
	v_fma_f64 v[133:134], v[74:75], s[36:37], v[141:142]
	v_fma_f64 v[141:142], v[72:73], s[14:15], -v[145:146]
	v_fma_f64 v[143:144], v[54:55], s[42:43], v[135:136]
	v_mul_f64 v[145:146], v[62:63], s[50:51]
	v_mul_f64 v[114:115], v[114:115], s[6:7]
	v_add_f64 v[123:124], v[139:140], v[129:130]
	v_mul_f64 v[139:140], v[110:111], s[18:19]
	v_add_f64 v[125:126], v[131:132], v[125:126]
	v_add_f64 v[129:130], v[133:134], v[137:138]
	v_mul_f64 v[131:132], v[112:113], s[42:43]
	v_add_f64 v[133:134], v[2:3], v[143:144]
	v_fma_f64 v[137:138], v[58:59], s[54:55], v[145:146]
	v_add_f64 v[127:128], v[141:142], v[127:128]
	v_fma_f64 v[135:136], v[54:55], s[40:41], v[135:136]
	v_fma_f64 v[141:142], v[54:55], s[28:29], v[114:115]
	;; [unrolled: 1-line block ×3, first 2 shown]
	v_mul_f64 v[112:113], v[112:113], s[12:13]
	v_fma_f64 v[143:144], v[52:53], s[24:25], -v[131:132]
	v_mul_f64 v[147:148], v[50:51], s[54:55]
	v_add_f64 v[114:115], v[137:138], v[133:134]
	v_fma_f64 v[133:134], v[66:67], s[46:47], v[139:140]
	v_mul_f64 v[137:138], v[108:109], s[0:1]
	v_fma_f64 v[131:132], v[52:53], s[24:25], v[131:132]
	v_mul_f64 v[151:152], v[60:61], s[46:47]
	v_fma_f64 v[153:154], v[52:53], s[6:7], v[112:113]
	v_fma_f64 v[52:53], v[52:53], s[6:7], -v[112:113]
	v_add_f64 v[143:144], v[0:1], v[143:144]
	v_fma_f64 v[149:150], v[48:49], s[50:51], -v[147:148]
	v_add_f64 v[112:113], v[133:134], v[114:115]
	v_fma_f64 v[114:115], v[92:93], s[22:23], v[137:138]
	v_mul_f64 v[133:134], v[104:105], s[14:15]
	v_mul_f64 v[157:158], v[98:99], s[34:35]
	v_add_f64 v[135:136], v[2:3], v[135:136]
	v_mul_f64 v[155:156], v[106:107], s[22:23]
	v_add_f64 v[141:142], v[2:3], v[141:142]
	v_add_f64 v[143:144], v[149:150], v[143:144]
	v_fma_f64 v[149:150], v[56:57], s[18:19], -v[151:152]
	v_add_f64 v[112:113], v[114:115], v[112:113]
	v_fma_f64 v[114:115], v[90:91], s[16:17], v[133:134]
	v_add_f64 v[2:3], v[2:3], v[54:55]
	v_mul_f64 v[54:55], v[62:63], s[24:25]
	v_mul_f64 v[50:51], v[50:51], s[42:43]
	v_add_f64 v[131:132], v[0:1], v[131:132]
	v_add_f64 v[153:154], v[0:1], v[153:154]
	;; [unrolled: 1-line block ×3, first 2 shown]
	v_fma_f64 v[149:150], v[64:65], s[0:1], -v[155:156]
	v_add_f64 v[62:63], v[114:115], v[112:113]
	v_fma_f64 v[112:113], v[86:87], s[38:39], v[157:158]
	v_mul_f64 v[159:160], v[102:103], s[16:17]
	v_add_f64 v[0:1], v[0:1], v[52:53]
	v_mul_f64 v[60:61], v[60:61], s[30:31]
	v_mul_f64 v[110:111], v[110:111], s[26:27]
	;; [unrolled: 1-line block ×3, first 2 shown]
	v_add_f64 v[52:53], v[149:150], v[143:144]
	v_mul_f64 v[143:144], v[100:101], s[38:39]
	v_add_f64 v[62:63], v[112:113], v[62:63]
	v_fma_f64 v[112:113], v[48:49], s[24:25], -v[50:51]
	v_fma_f64 v[114:115], v[88:89], s[14:15], -v[159:160]
	v_fma_f64 v[149:150], v[58:59], s[42:43], v[54:55]
	v_mul_f64 v[108:109], v[108:109], s[50:51]
	v_mul_f64 v[102:103], v[102:103], s[44:45]
	;; [unrolled: 1-line block ×3, first 2 shown]
	v_fma_f64 v[145:146], v[58:59], s[52:53], v[145:146]
	v_mul_f64 v[98:99], v[98:99], s[18:19]
	v_add_f64 v[0:1], v[112:113], v[0:1]
	v_fma_f64 v[112:113], v[56:57], s[26:27], -v[60:61]
	v_add_f64 v[52:53], v[114:115], v[52:53]
	v_fma_f64 v[114:115], v[84:85], s[34:35], -v[143:144]
	v_add_f64 v[2:3], v[149:150], v[2:3]
	v_fma_f64 v[149:150], v[66:67], s[30:31], v[110:111]
	v_mul_f64 v[161:162], v[96:97], s[26:27]
	v_mul_f64 v[100:101], v[100:101], s[46:47]
	v_add_f64 v[135:136], v[145:146], v[135:136]
	v_add_f64 v[0:1], v[112:113], v[0:1]
	v_fma_f64 v[112:113], v[64:65], s[50:51], -v[106:107]
	v_add_f64 v[52:53], v[114:115], v[52:53]
	v_fma_f64 v[114:115], v[92:93], s[54:55], v[108:109]
	v_add_f64 v[2:3], v[149:150], v[2:3]
	v_fma_f64 v[139:140], v[66:67], s[20:21], v[139:140]
	v_mul_f64 v[96:97], v[96:97], s[14:15]
	v_fma_f64 v[54:55], v[58:59], s[40:41], v[54:55]
	v_mul_f64 v[165:166], v[94:95], s[48:49]
	v_add_f64 v[0:1], v[112:113], v[0:1]
	v_fma_f64 v[112:113], v[88:89], s[34:35], -v[102:103]
	v_fma_f64 v[145:146], v[84:85], s[18:19], -v[100:101]
	v_add_f64 v[2:3], v[114:115], v[2:3]
	v_fma_f64 v[114:115], v[90:91], s[44:45], v[104:105]
	v_mul_f64 v[94:95], v[94:95], s[36:37]
	v_add_f64 v[135:136], v[139:140], v[135:136]
	v_fma_f64 v[137:138], v[92:93], s[10:11], v[137:138]
	v_fma_f64 v[66:67], v[66:67], s[48:49], v[110:111]
	v_add_f64 v[0:1], v[112:113], v[0:1]
	v_fma_f64 v[112:113], v[48:49], s[50:51], v[147:148]
	v_fma_f64 v[48:49], v[48:49], s[24:25], v[50:51]
	v_add_f64 v[2:3], v[114:115], v[2:3]
	v_fma_f64 v[114:115], v[86:87], s[46:47], v[98:99]
	v_add_f64 v[54:55], v[54:55], v[141:142]
	v_add_f64 v[135:136], v[137:138], v[135:136]
	v_fma_f64 v[133:134], v[90:91], s[36:37], v[133:134]
	v_add_f64 v[0:1], v[145:146], v[0:1]
	v_add_f64 v[58:59], v[112:113], v[131:132]
	v_fma_f64 v[112:113], v[56:57], s[18:19], v[151:152]
	v_fma_f64 v[56:57], v[56:57], s[26:27], v[60:61]
	v_add_f64 v[2:3], v[114:115], v[2:3]
	v_fma_f64 v[114:115], v[78:79], s[36:37], v[96:97]
	v_add_f64 v[48:49], v[48:49], v[153:154]
	v_fma_f64 v[131:132], v[76:77], s[14:15], -v[94:95]
	v_add_f64 v[54:55], v[66:67], v[54:55]
	v_fma_f64 v[66:67], v[90:91], s[38:39], v[104:105]
	v_add_f64 v[50:51], v[112:113], v[58:59]
	v_fma_f64 v[58:59], v[64:65], s[0:1], v[155:156]
	v_fma_f64 v[64:65], v[64:65], s[50:51], v[106:107]
	v_add_f64 v[110:111], v[114:115], v[2:3]
	v_fma_f64 v[2:3], v[92:93], s[52:53], v[108:109]
	v_add_f64 v[48:49], v[56:57], v[48:49]
	v_add_f64 v[112:113], v[131:132], v[0:1]
	;; [unrolled: 1-line block ×3, first 2 shown]
	v_mul_f64 v[60:61], v[80:81], s[6:7]
	v_add_f64 v[50:51], v[58:59], v[50:51]
	v_fma_f64 v[58:59], v[88:89], s[14:15], v[159:160]
	v_fma_f64 v[163:164], v[78:79], s[48:49], v[161:162]
	v_add_f64 v[2:3], v[2:3], v[54:55]
	v_fma_f64 v[54:55], v[86:87], s[44:45], v[157:158]
	v_add_f64 v[48:49], v[64:65], v[48:49]
	v_mul_f64 v[64:65], v[80:81], s[0:1]
	v_mul_f64 v[80:81], v[82:83], s[22:23]
	v_fma_f64 v[149:150], v[76:77], s[26:27], -v[165:166]
	v_add_f64 v[50:51], v[58:59], v[50:51]
	v_fma_f64 v[58:59], v[88:89], s[34:35], v[102:103]
	v_fma_f64 v[88:89], v[84:85], s[34:35], v[143:144]
	v_add_f64 v[0:1], v[54:55], v[0:1]
	v_fma_f64 v[54:55], v[86:87], s[20:21], v[98:99]
	v_add_f64 v[2:3], v[66:67], v[2:3]
	v_fma_f64 v[66:67], v[84:85], s[18:19], v[100:101]
	v_mul_f64 v[90:91], v[82:83], s[28:29]
	v_fma_f64 v[82:83], v[76:77], s[26:27], v[165:166]
	v_add_f64 v[48:49], v[58:59], v[48:49]
	v_fma_f64 v[58:59], v[78:79], s[30:31], v[161:162]
	v_add_f64 v[50:51], v[88:89], v[50:51]
	;; [unrolled: 2-line block ×3, first 2 shown]
	v_fma_f64 v[76:77], v[76:77], s[14:15], v[94:95]
	v_fma_f64 v[84:85], v[74:75], s[22:23], v[64:65]
	v_fma_f64 v[54:55], v[72:73], s[0:1], -v[80:81]
	v_add_f64 v[48:49], v[66:67], v[48:49]
	v_add_f64 v[62:63], v[163:164], v[62:63]
	;; [unrolled: 1-line block ×3, first 2 shown]
	v_fma_f64 v[56:57], v[74:75], s[28:29], v[60:61]
	v_fma_f64 v[92:93], v[72:73], s[6:7], -v[90:91]
	v_add_f64 v[58:59], v[58:59], v[0:1]
	v_fma_f64 v[60:61], v[74:75], s[12:13], v[60:61]
	v_add_f64 v[66:67], v[82:83], v[50:51]
	v_fma_f64 v[64:65], v[74:75], s[10:11], v[64:65]
	;; [unrolled: 2-line block ×3, first 2 shown]
	v_fma_f64 v[72:73], v[72:73], s[0:1], v[80:81]
	v_add_f64 v[76:77], v[76:77], v[48:49]
	v_add_f64 v[50:51], v[84:85], v[110:111]
	;; [unrolled: 1-line block ×6, first 2 shown]
	v_mul_u32_u24_e32 v60, 0x110, v68
	v_add3_u32 v60, 0, v60, v122
	v_add_f64 v[52:53], v[78:79], v[66:67]
	v_add_f64 v[58:59], v[64:65], v[74:75]
	v_add_f64 v[56:57], v[72:73], v[76:77]
	ds_write_b128 v60, v[4:7]
	ds_write_b128 v60, v[48:51] offset:16
	ds_write_b128 v60, v[0:3] offset:32
	;; [unrolled: 1-line block ×16, first 2 shown]
.LBB0_12:
	s_or_b64 exec, exec, s[4:5]
	v_mul_u32_u24_e32 v0, 6, v68
	v_lshlrev_b32_e32 v24, 4, v0
	s_waitcnt lgkmcnt(0)
	; wave barrier
	s_waitcnt lgkmcnt(0)
	global_load_dwordx4 v[0:3], v24, s[8:9]
	global_load_dwordx4 v[4:7], v24, s[8:9] offset:16
	global_load_dwordx4 v[8:11], v24, s[8:9] offset:32
	;; [unrolled: 1-line block ×5, first 2 shown]
	ds_read_b128 v[24:27], v116
	ds_read_b128 v[28:31], v119 offset:272
	ds_read_b128 v[32:35], v119 offset:544
	;; [unrolled: 1-line block ×13, first 2 shown]
	s_mov_b32 s4, 0x37e14327
	s_mov_b32 s6, 0x429ad128
	;; [unrolled: 1-line block ×20, first 2 shown]
	v_mov_b32_e32 v69, 0
	s_waitcnt lgkmcnt(0)
	; wave barrier
	s_waitcnt vmcnt(5) lgkmcnt(0)
	v_mul_f64 v[84:85], v[34:35], v[2:3]
	v_mul_f64 v[86:87], v[32:33], v[2:3]
	s_waitcnt vmcnt(4)
	v_mul_f64 v[88:89], v[42:43], v[6:7]
	v_mul_f64 v[90:91], v[40:41], v[6:7]
	s_waitcnt vmcnt(1)
	;; [unrolled: 3-line block ×3, first 2 shown]
	v_mul_f64 v[104:105], v[78:79], v[22:23]
	v_mul_f64 v[106:107], v[76:77], v[22:23]
	;; [unrolled: 1-line block ×10, first 2 shown]
	v_fma_f64 v[32:33], v[32:33], v[0:1], -v[84:85]
	v_fma_f64 v[34:35], v[34:35], v[0:1], v[86:87]
	v_fma_f64 v[40:41], v[40:41], v[4:5], -v[88:89]
	v_fma_f64 v[42:43], v[42:43], v[4:5], v[90:91]
	;; [unrolled: 2-line block ×4, first 2 shown]
	v_mul_f64 v[110:111], v[46:47], v[6:7]
	v_mul_f64 v[6:7], v[44:45], v[6:7]
	;; [unrolled: 1-line block ×6, first 2 shown]
	v_fma_f64 v[48:49], v[48:49], v[8:9], -v[92:93]
	v_fma_f64 v[50:51], v[50:51], v[8:9], v[94:95]
	v_fma_f64 v[56:57], v[56:57], v[12:13], -v[96:97]
	v_fma_f64 v[58:59], v[58:59], v[12:13], v[98:99]
	;; [unrolled: 2-line block ×4, first 2 shown]
	v_add_f64 v[0:1], v[32:33], v[76:77]
	v_add_f64 v[2:3], v[34:35], v[78:79]
	;; [unrolled: 1-line block ×4, first 2 shown]
	v_fma_f64 v[44:45], v[44:45], v[4:5], -v[110:111]
	v_fma_f64 v[46:47], v[46:47], v[4:5], v[6:7]
	v_fma_f64 v[60:61], v[60:61], v[12:13], -v[114:115]
	v_fma_f64 v[62:63], v[62:63], v[12:13], v[14:15]
	;; [unrolled: 2-line block ×3, first 2 shown]
	v_add_f64 v[4:5], v[32:33], -v[76:77]
	v_add_f64 v[6:7], v[34:35], -v[78:79]
	v_add_f64 v[12:13], v[40:41], -v[64:65]
	v_add_f64 v[14:15], v[42:43], -v[66:67]
	v_add_f64 v[16:17], v[48:49], v[56:57]
	v_add_f64 v[18:19], v[50:51], v[58:59]
	v_add_f64 v[32:33], v[56:57], -v[48:49]
	v_add_f64 v[34:35], v[58:59], -v[50:51]
	v_add_f64 v[40:41], v[8:9], v[0:1]
	v_add_f64 v[42:43], v[10:11], v[2:3]
	v_add_f64 v[48:49], v[8:9], -v[0:1]
	v_add_f64 v[50:51], v[10:11], -v[2:3]
	;; [unrolled: 1-line block ×6, first 2 shown]
	v_add_f64 v[56:57], v[32:33], v[12:13]
	v_add_f64 v[58:59], v[34:35], v[14:15]
	v_add_f64 v[64:65], v[32:33], -v[12:13]
	v_add_f64 v[66:67], v[34:35], -v[14:15]
	;; [unrolled: 1-line block ×4, first 2 shown]
	v_add_f64 v[16:17], v[16:17], v[40:41]
	v_add_f64 v[18:19], v[18:19], v[42:43]
	v_add_f64 v[32:33], v[4:5], -v[32:33]
	v_add_f64 v[34:35], v[6:7], -v[34:35]
	v_mul_f64 v[40:41], v[0:1], s[4:5]
	v_mul_f64 v[42:43], v[2:3], s[4:5]
	;; [unrolled: 1-line block ×4, first 2 shown]
	v_add_f64 v[0:1], v[24:25], v[16:17]
	v_add_f64 v[2:3], v[26:27], v[18:19]
	v_mul_f64 v[24:25], v[12:13], s[6:7]
	v_mul_f64 v[26:27], v[14:15], s[6:7]
	v_add_f64 v[4:5], v[56:57], v[4:5]
	v_add_f64 v[6:7], v[58:59], v[6:7]
	v_mul_f64 v[56:57], v[8:9], s[0:1]
	v_mul_f64 v[58:59], v[10:11], s[0:1]
	v_mul_f64 v[64:65], v[64:65], s[10:11]
	v_mul_f64 v[66:67], v[66:67], s[10:11]
	v_fma_f64 v[8:9], v[8:9], s[0:1], v[40:41]
	v_fma_f64 v[10:11], v[10:11], s[0:1], v[42:43]
	;; [unrolled: 1-line block ×4, first 2 shown]
	v_fma_f64 v[40:41], v[48:49], s[16:17], -v[40:41]
	v_fma_f64 v[42:43], v[50:51], s[16:17], -v[42:43]
	;; [unrolled: 1-line block ×6, first 2 shown]
	v_fma_f64 v[48:49], v[32:33], s[18:19], v[64:65]
	v_fma_f64 v[50:51], v[34:35], s[18:19], v[66:67]
	v_fma_f64 v[12:13], v[12:13], s[6:7], -v[64:65]
	v_fma_f64 v[14:15], v[14:15], s[6:7], -v[66:67]
	v_add_f64 v[40:41], v[40:41], v[16:17]
	v_add_f64 v[42:43], v[42:43], v[18:19]
	v_fma_f64 v[26:27], v[6:7], s[20:21], v[26:27]
	v_fma_f64 v[24:25], v[4:5], s[20:21], v[24:25]
	v_fma_f64 v[64:65], v[80:81], v[20:21], -v[124:125]
	v_fma_f64 v[66:67], v[82:83], v[20:21], v[22:23]
	v_add_f64 v[32:33], v[8:9], v[16:17]
	v_add_f64 v[34:35], v[10:11], v[18:19]
	;; [unrolled: 1-line block ×4, first 2 shown]
	v_fma_f64 v[16:17], v[6:7], s[20:21], v[14:15]
	v_fma_f64 v[18:19], v[4:5], s[20:21], v[12:13]
	v_add_f64 v[8:9], v[26:27], v[40:41]
	v_add_f64 v[10:11], v[42:43], -v[24:25]
	v_add_f64 v[20:21], v[40:41], -v[26:27]
	v_add_f64 v[22:23], v[24:25], v[42:43]
	v_add_f64 v[24:25], v[36:37], v[64:65]
	;; [unrolled: 1-line block ×5, first 2 shown]
	v_add_f64 v[12:13], v[56:57], -v[16:17]
	v_add_f64 v[14:15], v[18:19], v[58:59]
	v_add_f64 v[16:17], v[16:17], v[56:57]
	v_add_f64 v[18:19], v[58:59], -v[18:19]
	v_add_f64 v[36:37], v[36:37], -v[64:65]
	;; [unrolled: 1-line block ×5, first 2 shown]
	v_add_f64 v[56:57], v[52:53], v[60:61]
	v_add_f64 v[58:59], v[54:55], v[62:63]
	v_add_f64 v[52:53], v[60:61], -v[52:53]
	v_add_f64 v[54:55], v[62:63], -v[54:55]
	v_add_f64 v[60:61], v[40:41], v[24:25]
	v_add_f64 v[62:63], v[42:43], v[26:27]
	v_add_f64 v[64:65], v[40:41], -v[24:25]
	v_add_f64 v[66:67], v[42:43], -v[26:27]
	;; [unrolled: 1-line block ×6, first 2 shown]
	v_add_f64 v[24:25], v[52:53], v[44:45]
	v_add_f64 v[26:27], v[54:55], v[46:47]
	v_add_f64 v[76:77], v[52:53], -v[44:45]
	v_add_f64 v[78:79], v[54:55], -v[46:47]
	v_add_f64 v[56:57], v[56:57], v[60:61]
	v_add_f64 v[58:59], v[58:59], v[62:63]
	v_add_f64 v[44:45], v[44:45], -v[36:37]
	v_add_f64 v[46:47], v[46:47], -v[38:39]
	;; [unrolled: 1-line block ×4, first 2 shown]
	v_add_f64 v[36:37], v[24:25], v[36:37]
	v_add_f64 v[38:39], v[26:27], v[38:39]
	;; [unrolled: 1-line block ×4, first 2 shown]
	v_mul_f64 v[28:29], v[72:73], s[4:5]
	v_mul_f64 v[30:31], v[74:75], s[4:5]
	;; [unrolled: 1-line block ×8, first 2 shown]
	v_fma_f64 v[56:57], v[56:57], s[12:13], v[24:25]
	v_fma_f64 v[58:59], v[58:59], s[12:13], v[26:27]
	;; [unrolled: 1-line block ×4, first 2 shown]
	v_fma_f64 v[60:61], v[64:65], s[14:15], -v[60:61]
	v_fma_f64 v[62:63], v[66:67], s[14:15], -v[62:63]
	;; [unrolled: 1-line block ×4, first 2 shown]
	v_fma_f64 v[64:65], v[52:53], s[18:19], v[72:73]
	v_fma_f64 v[66:67], v[54:55], s[18:19], v[74:75]
	v_fma_f64 v[44:45], v[44:45], s[6:7], -v[72:73]
	v_fma_f64 v[46:47], v[46:47], s[6:7], -v[74:75]
	;; [unrolled: 1-line block ×4, first 2 shown]
	v_fma_f64 v[50:51], v[6:7], s[20:21], v[50:51]
	v_fma_f64 v[48:49], v[4:5], s[20:21], v[48:49]
	v_add_f64 v[72:73], v[40:41], v[56:57]
	v_add_f64 v[74:75], v[42:43], v[58:59]
	;; [unrolled: 1-line block ×6, first 2 shown]
	v_fma_f64 v[66:67], v[38:39], s[20:21], v[66:67]
	v_fma_f64 v[64:65], v[36:37], s[20:21], v[64:65]
	;; [unrolled: 1-line block ×6, first 2 shown]
	v_add_f64 v[4:5], v[50:51], v[32:33]
	v_add_f64 v[6:7], v[34:35], -v[48:49]
	v_add_f64 v[28:29], v[32:33], -v[50:51]
	v_add_f64 v[30:31], v[48:49], v[34:35]
	v_add_f64 v[32:33], v[66:67], v[72:73]
	v_add_f64 v[34:35], v[74:75], -v[64:65]
	v_add_f64 v[36:37], v[54:55], v[56:57]
	v_add_f64 v[38:39], v[58:59], -v[52:53]
	v_add_f64 v[40:41], v[60:61], -v[46:47]
	v_add_f64 v[42:43], v[76:77], v[62:63]
	v_add_f64 v[44:45], v[46:47], v[60:61]
	v_add_f64 v[46:47], v[62:63], -v[76:77]
	v_add_f64 v[48:49], v[56:57], -v[54:55]
	v_add_f64 v[50:51], v[52:53], v[58:59]
	v_add_f64 v[52:53], v[72:73], -v[66:67]
	v_add_f64 v[54:55], v[64:65], v[74:75]
	ds_write_b128 v119, v[0:3]
	ds_write_b128 v119, v[4:7] offset:272
	ds_write_b128 v119, v[8:11] offset:544
	;; [unrolled: 1-line block ×13, first 2 shown]
	v_lshlrev_b64 v[8:9], 4, v[68:69]
	v_mov_b32_e32 v0, s9
	v_add_co_u32_e64 v2, s[0:1], s8, v8
	v_addc_co_u32_e64 v3, s[0:1], v0, v9, s[0:1]
	s_waitcnt lgkmcnt(0)
	; wave barrier
	s_waitcnt lgkmcnt(0)
	global_load_dwordx4 v[4:7], v[2:3], off offset:1632
	global_load_dwordx4 v[10:13], v[2:3], off offset:1904
	;; [unrolled: 1-line block ×7, first 2 shown]
	ds_read_b128 v[34:37], v119 offset:1904
	ds_read_b128 v[38:41], v116
	ds_read_b128 v[42:45], v119 offset:272
	ds_read_b128 v[46:49], v119 offset:2176
	;; [unrolled: 1-line block ×12, first 2 shown]
	v_lshl_add_u32 v69, v120, 4, v121
	s_waitcnt lgkmcnt(0)
	; wave barrier
	s_waitcnt lgkmcnt(0)
	v_cmp_ne_u32_e64 s[0:1], 0, v68
	s_waitcnt vmcnt(6)
	v_mul_f64 v[0:1], v[36:37], v[6:7]
	v_mul_f64 v[6:7], v[34:35], v[6:7]
	s_waitcnt vmcnt(5)
	v_mul_f64 v[66:67], v[48:49], v[12:13]
	v_mul_f64 v[12:13], v[46:47], v[12:13]
	v_fma_f64 v[0:1], v[34:35], v[4:5], -v[0:1]
	v_fma_f64 v[6:7], v[36:37], v[4:5], v[6:7]
	v_fma_f64 v[34:35], v[46:47], v[10:11], -v[66:67]
	v_fma_f64 v[12:13], v[48:49], v[10:11], v[12:13]
	s_waitcnt vmcnt(4)
	v_mul_f64 v[4:5], v[52:53], v[16:17]
	v_mul_f64 v[10:11], v[50:51], v[16:17]
	s_waitcnt vmcnt(3)
	v_mul_f64 v[16:17], v[64:65], v[20:21]
	v_mul_f64 v[20:21], v[62:63], v[20:21]
	;; [unrolled: 3-line block ×4, first 2 shown]
	v_fma_f64 v[48:49], v[50:51], v[14:15], -v[4:5]
	v_fma_f64 v[50:51], v[52:53], v[14:15], v[10:11]
	v_fma_f64 v[52:53], v[62:63], v[18:19], -v[16:17]
	v_fma_f64 v[62:63], v[64:65], v[18:19], v[20:21]
	s_waitcnt vmcnt(0)
	v_mul_f64 v[18:19], v[94:95], v[32:33]
	v_mul_f64 v[20:21], v[92:93], v[32:33]
	v_fma_f64 v[36:37], v[72:73], v[22:23], -v[36:37]
	v_fma_f64 v[64:65], v[74:75], v[22:23], v[24:25]
	v_fma_f64 v[46:47], v[88:89], v[26:27], -v[46:47]
	v_fma_f64 v[66:67], v[90:91], v[26:27], v[28:29]
	v_add_f64 v[4:5], v[38:39], -v[0:1]
	v_add_f64 v[6:7], v[40:41], -v[6:7]
	;; [unrolled: 1-line block ×5, first 2 shown]
	v_fma_f64 v[0:1], v[92:93], v[30:31], -v[18:19]
	v_fma_f64 v[48:49], v[94:95], v[30:31], v[20:21]
	v_add_f64 v[16:17], v[56:57], -v[50:51]
	v_add_f64 v[30:31], v[58:59], -v[52:53]
	;; [unrolled: 1-line block ×3, first 2 shown]
	v_fma_f64 v[18:19], v[38:39], 2.0, -v[4:5]
	v_fma_f64 v[20:21], v[40:41], 2.0, -v[6:7]
	;; [unrolled: 1-line block ×4, first 2 shown]
	v_add_f64 v[34:35], v[80:81], -v[36:37]
	v_add_f64 v[36:37], v[82:83], -v[64:65]
	;; [unrolled: 1-line block ×6, first 2 shown]
	v_fma_f64 v[26:27], v[54:55], 2.0, -v[14:15]
	v_fma_f64 v[28:29], v[56:57], 2.0, -v[16:17]
	;; [unrolled: 1-line block ×10, first 2 shown]
	ds_write_b128 v119, v[18:21]
	ds_write_b128 v119, v[4:7] offset:1904
	ds_write_b128 v119, v[22:25] offset:272
	;; [unrolled: 1-line block ×13, first 2 shown]
	s_waitcnt lgkmcnt(0)
	; wave barrier
	s_waitcnt lgkmcnt(0)
	ds_read_b128 v[4:7], v116
	v_sub_u32_e32 v14, v118, v117
                                        ; implicit-def: $vgpr0_vgpr1
                                        ; implicit-def: $vgpr10_vgpr11
                                        ; implicit-def: $vgpr12_vgpr13
	s_and_saveexec_b64 s[4:5], s[0:1]
	s_xor_b64 s[0:1], exec, s[4:5]
	s_cbranch_execz .LBB0_14
; %bb.13:
	global_load_dwordx4 v[15:18], v[2:3], off offset:3536
	ds_read_b128 v[0:3], v14 offset:3808
                                        ; implicit-def: $vgpr118
	s_waitcnt lgkmcnt(0)
	v_add_f64 v[10:11], v[4:5], -v[0:1]
	v_add_f64 v[12:13], v[6:7], v[2:3]
	v_add_f64 v[2:3], v[6:7], -v[2:3]
	v_add_f64 v[0:1], v[4:5], v[0:1]
	v_mul_f64 v[6:7], v[10:11], 0.5
	v_mul_f64 v[4:5], v[12:13], 0.5
	;; [unrolled: 1-line block ×3, first 2 shown]
	s_waitcnt vmcnt(0)
	v_mul_f64 v[10:11], v[6:7], v[17:18]
	v_fma_f64 v[12:13], v[4:5], v[17:18], v[2:3]
	v_fma_f64 v[2:3], v[4:5], v[17:18], -v[2:3]
	v_fma_f64 v[19:20], v[0:1], 0.5, v[10:11]
	v_fma_f64 v[0:1], v[0:1], 0.5, -v[10:11]
	v_fma_f64 v[12:13], -v[15:16], v[6:7], v[12:13]
	v_fma_f64 v[2:3], -v[15:16], v[6:7], v[2:3]
	v_fma_f64 v[10:11], v[4:5], v[15:16], v[19:20]
	v_fma_f64 v[0:1], -v[4:5], v[15:16], v[0:1]
                                        ; implicit-def: $vgpr4_vgpr5
.LBB0_14:
	s_andn2_saveexec_b64 s[0:1], s[0:1]
	s_cbranch_execz .LBB0_16
; %bb.15:
	s_waitcnt lgkmcnt(0)
	v_add_f64 v[10:11], v[4:5], v[6:7]
	ds_read_b64 v[2:3], v118 offset:1912
	v_add_f64 v[0:1], v[4:5], -v[6:7]
	v_mov_b32_e32 v12, 0
	v_mov_b32_e32 v13, 0
	s_waitcnt lgkmcnt(0)
	v_xor_b32_e32 v3, 0x80000000, v3
	ds_write_b64 v118, v[2:3] offset:1912
	v_mov_b32_e32 v2, v12
	v_mov_b32_e32 v3, v13
.LBB0_16:
	s_or_b64 exec, exec, s[0:1]
	s_add_u32 s0, s8, 0xdd0
	s_addc_u32 s1, s9, 0
	s_waitcnt lgkmcnt(0)
	v_mov_b32_e32 v4, s1
	v_add_co_u32_e64 v19, s[0:1], s0, v8
	v_addc_co_u32_e64 v20, s[0:1], v4, v9, s[0:1]
	global_load_dwordx4 v[4:7], v[19:20], off offset:272
	global_load_dwordx4 v[15:18], v[19:20], off offset:544
	ds_write2_b64 v116, v[10:11], v[12:13] offset1:1
	ds_write_b128 v14, v[0:3] offset:3808
	ds_read_b128 v[0:3], v116 offset:272
	ds_read_b128 v[10:13], v14 offset:3536
	s_waitcnt lgkmcnt(0)
	v_add_f64 v[21:22], v[0:1], -v[10:11]
	v_add_f64 v[23:24], v[2:3], v[12:13]
	v_add_f64 v[2:3], v[2:3], -v[12:13]
	v_add_f64 v[0:1], v[0:1], v[10:11]
	v_mul_f64 v[12:13], v[21:22], 0.5
	v_mul_f64 v[21:22], v[23:24], 0.5
	v_mul_f64 v[2:3], v[2:3], 0.5
	s_waitcnt vmcnt(1)
	v_mul_f64 v[10:11], v[12:13], v[6:7]
	v_fma_f64 v[23:24], v[21:22], v[6:7], v[2:3]
	v_fma_f64 v[6:7], v[21:22], v[6:7], -v[2:3]
	v_fma_f64 v[25:26], v[0:1], 0.5, v[10:11]
	v_fma_f64 v[10:11], v[0:1], 0.5, -v[10:11]
	global_load_dwordx4 v[0:3], v[19:20], off offset:816
	v_fma_f64 v[23:24], -v[4:5], v[12:13], v[23:24]
	v_fma_f64 v[6:7], -v[4:5], v[12:13], v[6:7]
	v_fma_f64 v[12:13], v[21:22], v[4:5], v[25:26]
	v_fma_f64 v[4:5], -v[21:22], v[4:5], v[10:11]
	ds_write2_b64 v116, v[12:13], v[23:24] offset0:34 offset1:35
	ds_write_b128 v14, v[4:7] offset:3536
	ds_read_b128 v[4:7], v116 offset:544
	ds_read_b128 v[10:13], v14 offset:3264
	s_waitcnt lgkmcnt(0)
	v_add_f64 v[21:22], v[4:5], -v[10:11]
	v_add_f64 v[23:24], v[6:7], v[12:13]
	v_add_f64 v[6:7], v[6:7], -v[12:13]
	v_add_f64 v[4:5], v[4:5], v[10:11]
	v_mul_f64 v[12:13], v[21:22], 0.5
	v_mul_f64 v[21:22], v[23:24], 0.5
	v_mul_f64 v[6:7], v[6:7], 0.5
	s_waitcnt vmcnt(1)
	v_mul_f64 v[10:11], v[12:13], v[17:18]
	v_fma_f64 v[23:24], v[21:22], v[17:18], v[6:7]
	v_fma_f64 v[17:18], v[21:22], v[17:18], -v[6:7]
	v_fma_f64 v[25:26], v[4:5], 0.5, v[10:11]
	v_fma_f64 v[10:11], v[4:5], 0.5, -v[10:11]
	global_load_dwordx4 v[4:7], v[19:20], off offset:1088
	v_fma_f64 v[23:24], -v[15:16], v[12:13], v[23:24]
	v_fma_f64 v[12:13], -v[15:16], v[12:13], v[17:18]
	v_fma_f64 v[17:18], v[21:22], v[15:16], v[25:26]
	v_fma_f64 v[10:11], -v[21:22], v[15:16], v[10:11]
	ds_write2_b64 v116, v[17:18], v[23:24] offset0:68 offset1:69
	;; [unrolled: 23-line block ×4, first 2 shown]
	ds_write_b128 v14, v[4:7] offset:2720
	ds_read_b128 v[4:7], v116 offset:1360
	ds_read_b128 v[15:18], v14 offset:2448
	s_waitcnt lgkmcnt(0)
	v_add_f64 v[19:20], v[4:5], -v[15:16]
	v_add_f64 v[21:22], v[6:7], v[17:18]
	v_add_f64 v[6:7], v[6:7], -v[17:18]
	v_add_f64 v[4:5], v[4:5], v[15:16]
	v_mul_f64 v[17:18], v[19:20], 0.5
	v_mul_f64 v[19:20], v[21:22], 0.5
	v_mul_f64 v[6:7], v[6:7], 0.5
	s_waitcnt vmcnt(1)
	v_mul_f64 v[15:16], v[17:18], v[12:13]
	v_fma_f64 v[21:22], v[19:20], v[12:13], v[6:7]
	v_fma_f64 v[6:7], v[19:20], v[12:13], -v[6:7]
	v_fma_f64 v[12:13], v[4:5], 0.5, v[15:16]
	v_fma_f64 v[4:5], v[4:5], 0.5, -v[15:16]
	v_fma_f64 v[15:16], -v[10:11], v[17:18], v[21:22]
	v_fma_f64 v[6:7], -v[10:11], v[17:18], v[6:7]
	v_fma_f64 v[12:13], v[19:20], v[10:11], v[12:13]
	v_fma_f64 v[4:5], -v[19:20], v[10:11], v[4:5]
	ds_write2_b64 v116, v[12:13], v[15:16] offset0:170 offset1:171
	ds_write_b128 v14, v[4:7] offset:2448
	ds_read_b128 v[4:7], v116 offset:1632
	ds_read_b128 v[10:13], v14 offset:2176
	s_waitcnt lgkmcnt(0)
	v_add_f64 v[15:16], v[4:5], -v[10:11]
	v_add_f64 v[17:18], v[6:7], v[12:13]
	v_add_f64 v[6:7], v[6:7], -v[12:13]
	v_add_f64 v[4:5], v[4:5], v[10:11]
	v_mul_f64 v[12:13], v[15:16], 0.5
	v_mul_f64 v[15:16], v[17:18], 0.5
	;; [unrolled: 1-line block ×3, first 2 shown]
	s_waitcnt vmcnt(0)
	v_mul_f64 v[10:11], v[12:13], v[2:3]
	v_fma_f64 v[17:18], v[15:16], v[2:3], v[6:7]
	v_fma_f64 v[2:3], v[15:16], v[2:3], -v[6:7]
	v_fma_f64 v[6:7], v[4:5], 0.5, v[10:11]
	v_fma_f64 v[4:5], v[4:5], 0.5, -v[10:11]
	v_fma_f64 v[10:11], -v[0:1], v[12:13], v[17:18]
	v_fma_f64 v[2:3], -v[0:1], v[12:13], v[2:3]
	v_fma_f64 v[6:7], v[15:16], v[0:1], v[6:7]
	v_fma_f64 v[0:1], -v[15:16], v[0:1], v[4:5]
	ds_write2_b64 v116, v[6:7], v[10:11] offset0:204 offset1:205
	ds_write_b128 v14, v[0:3] offset:2176
	s_waitcnt lgkmcnt(0)
	; wave barrier
	s_waitcnt lgkmcnt(0)
	s_and_saveexec_b64 s[0:1], vcc
	s_cbranch_execz .LBB0_19
; %bb.17:
	ds_read_b128 v[2:5], v116
	ds_read_b128 v[10:13], v116 offset:272
	ds_read_b128 v[14:17], v116 offset:544
	v_mov_b32_e32 v1, s3
	v_add_co_u32_e32 v0, vcc, s2, v70
	v_addc_co_u32_e32 v1, vcc, v1, v71, vcc
	v_add_co_u32_e32 v22, vcc, v0, v8
	v_addc_co_u32_e32 v23, vcc, v1, v9, vcc
	ds_read_b128 v[6:9], v116 offset:816
	s_waitcnt lgkmcnt(3)
	global_store_dwordx4 v[22:23], v[2:5], off
	s_waitcnt lgkmcnt(2)
	global_store_dwordx4 v[22:23], v[10:13], off offset:272
	s_waitcnt lgkmcnt(1)
	global_store_dwordx4 v[22:23], v[14:17], off offset:544
	ds_read_b128 v[2:5], v116 offset:1088
	v_cmp_eq_u32_e32 vcc, 16, v68
	s_waitcnt lgkmcnt(1)
	global_store_dwordx4 v[22:23], v[6:9], off offset:816
	ds_read_b128 v[6:9], v116 offset:1360
	ds_read_b128 v[10:13], v116 offset:1632
	;; [unrolled: 1-line block ×3, first 2 shown]
	s_waitcnt lgkmcnt(3)
	global_store_dwordx4 v[22:23], v[2:5], off offset:1088
	ds_read_b128 v[2:5], v116 offset:2176
	s_waitcnt lgkmcnt(3)
	global_store_dwordx4 v[22:23], v[6:9], off offset:1360
	s_waitcnt lgkmcnt(2)
	global_store_dwordx4 v[22:23], v[10:13], off offset:1632
	;; [unrolled: 2-line block ×3, first 2 shown]
	ds_read_b128 v[6:9], v116 offset:2448
	s_waitcnt lgkmcnt(1)
	global_store_dwordx4 v[22:23], v[2:5], off offset:2176
	ds_read_b128 v[2:5], v116 offset:2720
	ds_read_b128 v[10:13], v116 offset:2992
	;; [unrolled: 1-line block ×4, first 2 shown]
	s_waitcnt lgkmcnt(4)
	global_store_dwordx4 v[22:23], v[6:9], off offset:2448
	s_waitcnt lgkmcnt(3)
	global_store_dwordx4 v[22:23], v[2:5], off offset:2720
	;; [unrolled: 2-line block ×5, first 2 shown]
	s_and_b64 exec, exec, vcc
	s_cbranch_execz .LBB0_19
; %bb.18:
	ds_read_b128 v[2:5], v116 offset:3552
	s_waitcnt lgkmcnt(0)
	global_store_dwordx4 v[0:1], v[2:5], off offset:3808
.LBB0_19:
	s_endpgm
	.section	.rodata,"a",@progbits
	.p2align	6, 0x0
	.amdhsa_kernel fft_rtc_fwd_len238_factors_17_7_2_wgs_51_tpt_17_halfLds_dp_ip_CI_unitstride_sbrr_R2C_dirReg
		.amdhsa_group_segment_fixed_size 0
		.amdhsa_private_segment_fixed_size 0
		.amdhsa_kernarg_size 88
		.amdhsa_user_sgpr_count 6
		.amdhsa_user_sgpr_private_segment_buffer 1
		.amdhsa_user_sgpr_dispatch_ptr 0
		.amdhsa_user_sgpr_queue_ptr 0
		.amdhsa_user_sgpr_kernarg_segment_ptr 1
		.amdhsa_user_sgpr_dispatch_id 0
		.amdhsa_user_sgpr_flat_scratch_init 0
		.amdhsa_user_sgpr_private_segment_size 0
		.amdhsa_uses_dynamic_stack 0
		.amdhsa_system_sgpr_private_segment_wavefront_offset 0
		.amdhsa_system_sgpr_workgroup_id_x 1
		.amdhsa_system_sgpr_workgroup_id_y 0
		.amdhsa_system_sgpr_workgroup_id_z 0
		.amdhsa_system_sgpr_workgroup_info 0
		.amdhsa_system_vgpr_workitem_id 0
		.amdhsa_next_free_vgpr 167
		.amdhsa_next_free_sgpr 56
		.amdhsa_reserve_vcc 1
		.amdhsa_reserve_flat_scratch 0
		.amdhsa_float_round_mode_32 0
		.amdhsa_float_round_mode_16_64 0
		.amdhsa_float_denorm_mode_32 3
		.amdhsa_float_denorm_mode_16_64 3
		.amdhsa_dx10_clamp 1
		.amdhsa_ieee_mode 1
		.amdhsa_fp16_overflow 0
		.amdhsa_exception_fp_ieee_invalid_op 0
		.amdhsa_exception_fp_denorm_src 0
		.amdhsa_exception_fp_ieee_div_zero 0
		.amdhsa_exception_fp_ieee_overflow 0
		.amdhsa_exception_fp_ieee_underflow 0
		.amdhsa_exception_fp_ieee_inexact 0
		.amdhsa_exception_int_div_zero 0
	.end_amdhsa_kernel
	.text
.Lfunc_end0:
	.size	fft_rtc_fwd_len238_factors_17_7_2_wgs_51_tpt_17_halfLds_dp_ip_CI_unitstride_sbrr_R2C_dirReg, .Lfunc_end0-fft_rtc_fwd_len238_factors_17_7_2_wgs_51_tpt_17_halfLds_dp_ip_CI_unitstride_sbrr_R2C_dirReg
                                        ; -- End function
	.section	.AMDGPU.csdata,"",@progbits
; Kernel info:
; codeLenInByte = 12512
; NumSgprs: 60
; NumVgprs: 167
; ScratchSize: 0
; MemoryBound: 0
; FloatMode: 240
; IeeeMode: 1
; LDSByteSize: 0 bytes/workgroup (compile time only)
; SGPRBlocks: 7
; VGPRBlocks: 41
; NumSGPRsForWavesPerEU: 60
; NumVGPRsForWavesPerEU: 167
; Occupancy: 1
; WaveLimiterHint : 1
; COMPUTE_PGM_RSRC2:SCRATCH_EN: 0
; COMPUTE_PGM_RSRC2:USER_SGPR: 6
; COMPUTE_PGM_RSRC2:TRAP_HANDLER: 0
; COMPUTE_PGM_RSRC2:TGID_X_EN: 1
; COMPUTE_PGM_RSRC2:TGID_Y_EN: 0
; COMPUTE_PGM_RSRC2:TGID_Z_EN: 0
; COMPUTE_PGM_RSRC2:TIDIG_COMP_CNT: 0
	.type	__hip_cuid_28c3e1c2c4affdd9,@object ; @__hip_cuid_28c3e1c2c4affdd9
	.section	.bss,"aw",@nobits
	.globl	__hip_cuid_28c3e1c2c4affdd9
__hip_cuid_28c3e1c2c4affdd9:
	.byte	0                               ; 0x0
	.size	__hip_cuid_28c3e1c2c4affdd9, 1

	.ident	"AMD clang version 19.0.0git (https://github.com/RadeonOpenCompute/llvm-project roc-6.4.0 25133 c7fe45cf4b819c5991fe208aaa96edf142730f1d)"
	.section	".note.GNU-stack","",@progbits
	.addrsig
	.addrsig_sym __hip_cuid_28c3e1c2c4affdd9
	.amdgpu_metadata
---
amdhsa.kernels:
  - .args:
      - .actual_access:  read_only
        .address_space:  global
        .offset:         0
        .size:           8
        .value_kind:     global_buffer
      - .offset:         8
        .size:           8
        .value_kind:     by_value
      - .actual_access:  read_only
        .address_space:  global
        .offset:         16
        .size:           8
        .value_kind:     global_buffer
      - .actual_access:  read_only
        .address_space:  global
        .offset:         24
        .size:           8
        .value_kind:     global_buffer
      - .offset:         32
        .size:           8
        .value_kind:     by_value
      - .actual_access:  read_only
        .address_space:  global
        .offset:         40
        .size:           8
        .value_kind:     global_buffer
      - .actual_access:  read_only
        .address_space:  global
        .offset:         48
        .size:           8
        .value_kind:     global_buffer
      - .offset:         56
        .size:           4
        .value_kind:     by_value
      - .actual_access:  read_only
        .address_space:  global
        .offset:         64
        .size:           8
        .value_kind:     global_buffer
      - .actual_access:  read_only
        .address_space:  global
        .offset:         72
        .size:           8
        .value_kind:     global_buffer
      - .address_space:  global
        .offset:         80
        .size:           8
        .value_kind:     global_buffer
    .group_segment_fixed_size: 0
    .kernarg_segment_align: 8
    .kernarg_segment_size: 88
    .language:       OpenCL C
    .language_version:
      - 2
      - 0
    .max_flat_workgroup_size: 51
    .name:           fft_rtc_fwd_len238_factors_17_7_2_wgs_51_tpt_17_halfLds_dp_ip_CI_unitstride_sbrr_R2C_dirReg
    .private_segment_fixed_size: 0
    .sgpr_count:     60
    .sgpr_spill_count: 0
    .symbol:         fft_rtc_fwd_len238_factors_17_7_2_wgs_51_tpt_17_halfLds_dp_ip_CI_unitstride_sbrr_R2C_dirReg.kd
    .uniform_work_group_size: 1
    .uses_dynamic_stack: false
    .vgpr_count:     167
    .vgpr_spill_count: 0
    .wavefront_size: 64
amdhsa.target:   amdgcn-amd-amdhsa--gfx906
amdhsa.version:
  - 1
  - 2
...

	.end_amdgpu_metadata
